;; amdgpu-corpus repo=ggml-org/llama.cpp kind=compiled arch=gfx90a opt=O3
	.text
	.amdgcn_target "amdgcn-amd-amdhsa--gfx90a"
	.amdhsa_code_object_version 6
	.section	.text._ZL15flash_attn_tileILi192ELi128ELi2ELi16ELb0EEvPKcS1_S1_S1_S1_PKiPfP15HIP_vector_typeIfLj2EEffffjfiS5_IjLj3EEiiiiiiiiiiiliiliiiiil,"axG",@progbits,_ZL15flash_attn_tileILi192ELi128ELi2ELi16ELb0EEvPKcS1_S1_S1_S1_PKiPfP15HIP_vector_typeIfLj2EEffffjfiS5_IjLj3EEiiiiiiiiiiiliiliiiiil,comdat
	.globl	_ZL15flash_attn_tileILi192ELi128ELi2ELi16ELb0EEvPKcS1_S1_S1_S1_PKiPfP15HIP_vector_typeIfLj2EEffffjfiS5_IjLj3EEiiiiiiiiiiiliiliiiiil ; -- Begin function _ZL15flash_attn_tileILi192ELi128ELi2ELi16ELb0EEvPKcS1_S1_S1_S1_PKiPfP15HIP_vector_typeIfLj2EEffffjfiS5_IjLj3EEiiiiiiiiiiiliiliiiiil
	.p2align	8
	.type	_ZL15flash_attn_tileILi192ELi128ELi2ELi16ELb0EEvPKcS1_S1_S1_S1_PKiPfP15HIP_vector_typeIfLj2EEffffjfiS5_IjLj3EEiiiiiiiiiiiliiliiiiil,@function
_ZL15flash_attn_tileILi192ELi128ELi2ELi16ELb0EEvPKcS1_S1_S1_S1_PKiPfP15HIP_vector_typeIfLj2EEffffjfiS5_IjLj3EEiiiiiiiiiiiliiliiiiil: ; @_ZL15flash_attn_tileILi192ELi128ELi2ELi16ELb0EEvPKcS1_S1_S1_S1_PKiPfP15HIP_vector_typeIfLj2EEffffjfiS5_IjLj3EEiiiiiiiiiiiliiliiiiil
; %bb.0:
	s_load_dwordx4 s[28:31], s[4:5], 0x5c
	s_load_dwordx2 s[34:35], s[4:5], 0x80
	s_load_dwordx16 s[12:27], s[4:5], 0x0
	s_mov_b64 s[36:37], 0
	s_waitcnt lgkmcnt(0)
	s_ashr_i32 s0, s31, 31
	s_lshr_b32 s0, s0, 28
	s_add_i32 s0, s31, s0
	s_ashr_i32 s0, s0, 4
	v_cvt_f32_u32_e32 v1, s0
	s_sub_i32 s1, 0, s0
	v_rcp_iflag_f32_e32 v1, v1
	v_mul_f32_e32 v1, 0x4f7ffffe, v1
	v_cvt_u32_f32_e32 v1, v1
	v_readfirstlane_b32 s2, v1
	s_mul_i32 s1, s1, s2
	s_mul_hi_u32 s1, s2, s1
	s_add_i32 s2, s2, s1
	s_mul_hi_u32 s1, s8, s2
	s_mul_i32 s2, s1, s0
	s_sub_i32 s2, s8, s2
	s_add_i32 s3, s1, 1
	s_sub_i32 s9, s2, s0
	s_cmp_ge_u32 s2, s0
	s_cselect_b32 s1, s3, s1
	s_cselect_b32 s2, s9, s2
	s_add_i32 s3, s1, 1
	s_cmp_ge_u32 s2, s0
	s_cselect_b32 s33, s3, s1
	s_abs_i32 s0, s35
	v_cvt_f32_u32_e32 v1, s0
	s_lshl_b32 s1, s8, 4
	s_mul_i32 s8, s33, s31
	s_xor_b32 s2, s31, s35
	v_rcp_iflag_f32_e32 v1, v1
	s_sub_i32 s9, 0, s0
	s_sub_i32 s35, s1, s8
	s_abs_i32 s3, s31
	v_mul_f32_e32 v1, 0x4f7ffffe, v1
	v_cvt_u32_f32_e32 v1, v1
	s_ashr_i32 s2, s2, 31
	v_readfirstlane_b32 s1, v1
	s_mul_i32 s9, s9, s1
	s_mul_hi_u32 s8, s1, s9
	s_add_i32 s1, s1, s8
	s_mul_hi_u32 s1, s3, s1
	s_mul_i32 s8, s1, s0
	s_sub_i32 s3, s3, s8
	s_add_i32 s9, s1, 1
	s_sub_i32 s8, s3, s0
	s_cmp_ge_u32 s3, s0
	s_cselect_b32 s1, s9, s1
	s_cselect_b32 s3, s8, s3
	s_add_i32 s8, s1, 1
	s_cmp_ge_u32 s3, s0
	s_cselect_b32 s0, s8, s1
	s_xor_b32 s0, s0, s2
	s_sub_i32 s39, s0, s2
	s_abs_i32 s38, s39
	v_cvt_f32_u32_e32 v1, s38
	s_load_dwordx2 s[8:9], s[4:5], 0xb8
	s_cmp_eq_u64 s[18:19], 0
	v_rcp_iflag_f32_e32 v1, v1
	v_mul_f32_e32 v1, 0x4f7ffffe, v1
	v_cvt_u32_f32_e32 v1, v1
	v_readfirstlane_b32 s40, v1
	s_cbranch_scc1 .LBB0_2
; %bb.1:
	s_waitcnt lgkmcnt(0)
	s_abs_i32 s2, s8
	v_cvt_f32_u32_e32 v1, s2
	s_sub_i32 s10, 0, s2
	s_abs_i32 s8, s33
	s_ashr_i32 s3, s33, 31
	v_rcp_iflag_f32_e32 v1, v1
	s_load_dwordx2 s[0:1], s[4:5], 0xc8
	v_mul_f32_e32 v1, 0x4f7ffffe, v1
	v_cvt_u32_f32_e32 v1, v1
	v_readfirstlane_b32 s11, v1
	s_mul_i32 s10, s10, s11
	s_mul_hi_u32 s10, s11, s10
	s_add_i32 s11, s11, s10
	s_mul_hi_u32 s10, s8, s11
	s_mul_i32 s10, s10, s2
	s_sub_i32 s8, s8, s10
	s_sub_i32 s10, s8, s2
	s_cmp_ge_u32 s8, s2
	s_cselect_b32 s8, s10, s8
	s_sub_i32 s10, s8, s2
	s_cmp_ge_u32 s8, s2
	s_cselect_b32 s2, s10, s8
	s_xor_b32 s2, s2, s3
	s_sub_i32 s2, s2, s3
	s_ashr_i32 s3, s2, 31
	s_waitcnt lgkmcnt(0)
	s_mul_i32 s1, s2, s1
	s_mul_hi_u32 s8, s2, s0
	s_add_i32 s1, s8, s1
	s_mul_i32 s3, s3, s0
	s_add_i32 s1, s1, s3
	s_mul_i32 s2, s2, s0
	s_add_u32 s36, s18, s2
	s_addc_u32 s37, s19, s1
.LBB0_2:
	s_load_dwordx4 s[0:3], s[4:5], 0x70
	v_bfe_u32 v18, v0, 10, 10
	v_lshrrev_b32_e32 v1, 2, v18
	v_lshl_add_u32 v5, s6, 1, v1
	v_and_b32_e32 v4, 0x3ff, v0
	s_waitcnt lgkmcnt(0)
	s_mul_i32 s2, s33, s2
	s_ashr_i32 s8, s2, 31
	v_mul_hi_u32 v0, s28, v5
	s_mul_i32 s3, s35, s1
	s_add_u32 s2, s12, s2
	v_add_u32_e32 v0, v5, v0
	s_addc_u32 s8, s13, s8
	s_ashr_i32 s10, s3, 31
	v_lshrrev_b32_e32 v0, s29, v0
	s_add_u32 s12, s2, s3
	v_mul_lo_u32 v0, v0, s30
	s_addc_u32 s8, s8, s10
	v_sub_u32_e32 v16, v5, v0
	s_ashr_i32 s10, s0, 31
	v_mov_b32_e32 v0, s0
	v_alignbit_b32 v0, s10, v0, 2
	v_mad_u64_u32 v[0:1], s[2:3], v0, v16, 0
	v_mov_b32_e32 v2, v1
	s_lshr_b32 s0, s10, 2
	v_mad_u64_u32 v[2:3], s[2:3], s0, v16, v[2:3]
	v_mov_b32_e32 v1, v2
	v_lshlrev_b64 v[0:1], 2, v[0:1]
	v_mov_b32_e32 v2, s8
	v_add_co_u32_e32 v0, vcc, s12, v0
	v_addc_co_u32_e32 v1, vcc, v2, v1, vcc
	v_lshlrev_b32_e32 v2, 4, v4
	v_lshlrev_b32_e32 v19, 2, v18
	s_ashr_i32 s11, s1, 31
	v_add_co_u32_e32 v2, vcc, v0, v2
	v_mov_b32_e32 v0, s1
	v_and_b32_e32 v7, 12, v19
	v_alignbit_b32 v0, s11, v0, 2
	v_addc_co_u32_e32 v3, vcc, 0, v1, vcc
	v_mad_u64_u32 v[0:1], s[2:3], v0, v7, 0
	v_mov_b32_e32 v6, v1
	s_lshr_b32 s0, s11, 2
	v_mad_u64_u32 v[8:9], s[2:3], s0, v7, v[6:7]
	v_mov_b32_e32 v1, v8
	v_lshlrev_b64 v[0:1], 2, v[0:1]
	v_add_co_u32_e32 v0, vcc, v2, v0
	v_addc_co_u32_e32 v1, vcc, v3, v1, vcc
	global_load_dwordx4 v[10:13], v[0:1], off
	s_load_dword s2, s[4:5], 0x40
	v_lshlrev_b32_e32 v6, 1, v4
	v_mul_u32_u24_e32 v8, 0x180, v18
	s_mov_b32 s10, s1
	v_add_lshl_u32 v8, v8, v6, 2
	s_waitcnt lgkmcnt(0)
	s_mov_b32 s3, s2
	s_lshr_b64 s[10:11], s[10:11], 2
	v_cmp_gt_u32_e32 vcc, 16, v4
	s_waitcnt vmcnt(0)
	v_pk_mul_f32 v[10:11], v[10:11], s[2:3] op_sel_hi:[1,0]
	v_pk_mul_f32 v[12:13], v[12:13], s[2:3] op_sel_hi:[1,0]
	v_cvt_f16_f32_e32 v9, v11
	v_cvt_f16_f32_e32 v11, v13
	;; [unrolled: 1-line block ×4, first 2 shown]
	v_pack_b32_f16 v11, v12, v11
	v_pack_b32_f16 v10, v10, v9
	ds_write_b64 v8, v[10:11]
	s_and_saveexec_b64 s[0:1], vcc
	s_cbranch_execz .LBB0_4
; %bb.3:
	global_load_dwordx4 v[10:13], v[0:1], off offset:512
	s_waitcnt vmcnt(0)
	v_pk_mul_f32 v[0:1], v[10:11], s[2:3]
	v_pk_mul_f32 v[10:11], v[12:13], s[2:3]
	v_cvt_f16_f32_e32 v1, v1
	v_cvt_f16_f32_e32 v0, v0
	;; [unrolled: 1-line block ×4, first 2 shown]
	v_pack_b32_f16 v0, v0, v1
	v_pack_b32_f16 v1, v10, v9
	ds_write_b64 v8, v[0:1] offset:256
.LBB0_4:
	s_or_b64 exec, exec, s[0:1]
	v_or_b32_e32 v12, 1, v19
	v_and_b32_e32 v9, 13, v12
	v_mad_u64_u32 v[0:1], s[0:1], s10, v9, 0
	v_mov_b32_e32 v8, v1
	v_mad_u64_u32 v[8:9], s[0:1], s11, v9, v[8:9]
	v_mov_b32_e32 v1, v8
	v_lshlrev_b64 v[0:1], 2, v[0:1]
	v_add_co_u32_e64 v0, s[0:1], v2, v0
	v_addc_co_u32_e64 v1, s[0:1], v3, v1, s[0:1]
	global_load_dwordx4 v[8:11], v[0:1], off
	s_waitcnt vmcnt(0)
	v_pk_mul_f32 v[8:9], v[8:9], s[2:3]
	v_pk_mul_f32 v[10:11], v[10:11], s[2:3]
	v_cvt_f16_f32_e32 v13, v9
	v_cvt_f16_f32_e32 v9, v11
	;; [unrolled: 1-line block ×4, first 2 shown]
	v_mul_u32_u24_e32 v11, 0x60, v12
	v_add_lshl_u32 v6, v11, v6, 2
	v_pack_b32_f16 v9, v10, v9
	v_pack_b32_f16 v8, v8, v13
	ds_write_b64 v6, v[8:9]
	s_and_saveexec_b64 s[0:1], vcc
	s_cbranch_execz .LBB0_6
; %bb.5:
	global_load_dwordx4 v[8:11], v[0:1], off offset:512
	s_waitcnt vmcnt(0)
	v_pk_mul_f32 v[0:1], v[8:9], s[2:3]
	v_pk_mul_f32 v[8:9], v[10:11], s[2:3]
	v_cvt_f16_f32_e32 v1, v1
	v_cvt_f16_f32_e32 v0, v0
	;; [unrolled: 1-line block ×4, first 2 shown]
	v_pack_b32_f16 v0, v0, v1
	v_pack_b32_f16 v1, v8, v9
	ds_write_b64 v6, v[0:1] offset:256
.LBB0_6:
	s_or_b64 exec, exec, s[0:1]
	v_or_b32_e32 v0, 2, v19
	v_and_b32_e32 v9, 14, v0
	v_mad_u64_u32 v[0:1], s[0:1], s10, v9, 0
	v_mov_b32_e32 v8, v1
	v_mad_u64_u32 v[8:9], s[0:1], s11, v9, v[8:9]
	v_mov_b32_e32 v1, v8
	v_lshlrev_b64 v[0:1], 2, v[0:1]
	v_add_co_u32_e64 v0, s[0:1], v2, v0
	v_addc_co_u32_e64 v1, s[0:1], v3, v1, s[0:1]
	global_load_dwordx4 v[8:11], v[0:1], off
	s_waitcnt vmcnt(0)
	v_pk_mul_f32 v[8:9], v[8:9], s[2:3]
	v_pk_mul_f32 v[10:11], v[10:11], s[2:3]
	v_cvt_f16_f32_e32 v12, v9
	v_cvt_f16_f32_e32 v9, v11
	;; [unrolled: 1-line block ×4, first 2 shown]
	v_pack_b32_f16 v9, v10, v9
	v_pack_b32_f16 v8, v8, v12
	ds_write_b64 v6, v[8:9] offset:384
	s_and_saveexec_b64 s[0:1], vcc
	s_cbranch_execz .LBB0_8
; %bb.7:
	global_load_dwordx4 v[8:11], v[0:1], off offset:512
	s_waitcnt vmcnt(0)
	v_pk_mul_f32 v[0:1], v[8:9], s[2:3]
	v_pk_mul_f32 v[8:9], v[10:11], s[2:3]
	v_cvt_f16_f32_e32 v1, v1
	v_cvt_f16_f32_e32 v0, v0
	v_cvt_f16_f32_e32 v9, v9
	v_cvt_f16_f32_e32 v8, v8
	v_pack_b32_f16 v0, v0, v1
	v_pack_b32_f16 v1, v8, v9
	ds_write_b64 v6, v[0:1] offset:640
.LBB0_8:
	s_or_b64 exec, exec, s[0:1]
	v_or_b32_e32 v0, 3, v19
	v_and_b32_e32 v9, 15, v0
	v_mad_u64_u32 v[0:1], s[0:1], s10, v9, 0
	v_mov_b32_e32 v8, v1
	v_mad_u64_u32 v[8:9], s[0:1], s11, v9, v[8:9]
	v_mov_b32_e32 v1, v8
	v_lshlrev_b64 v[0:1], 2, v[0:1]
	v_add_co_u32_e64 v0, s[0:1], v2, v0
	v_addc_co_u32_e64 v1, s[0:1], v3, v1, s[0:1]
	global_load_dwordx4 v[8:11], v[0:1], off
	s_waitcnt vmcnt(0)
	v_pk_mul_f32 v[2:3], v[8:9], s[2:3]
	v_pk_mul_f32 v[8:9], v[10:11], s[2:3]
	v_cvt_f16_f32_e32 v10, v3
	v_cvt_f16_f32_e32 v3, v9
	v_cvt_f16_f32_e32 v8, v8
	v_cvt_f16_f32_e32 v2, v2
	v_pack_b32_f16 v3, v8, v3
	v_pack_b32_f16 v2, v2, v10
	ds_write_b64 v6, v[2:3] offset:768
	s_and_saveexec_b64 s[0:1], vcc
	s_cbranch_execz .LBB0_10
; %bb.9:
	global_load_dwordx4 v[0:3], v[0:1], off offset:512
	s_waitcnt vmcnt(0)
	v_pk_mul_f32 v[0:1], v[0:1], s[2:3]
	v_pk_mul_f32 v[2:3], v[2:3], s[2:3]
	v_cvt_f16_f32_e32 v1, v1
	v_cvt_f16_f32_e32 v0, v0
	;; [unrolled: 1-line block ×4, first 2 shown]
	v_pack_b32_f16 v0, v0, v1
	v_pack_b32_f16 v1, v2, v3
	ds_write_b64 v6, v[0:1] offset:1024
.LBB0_10:
	s_or_b64 exec, exec, s[0:1]
	s_cmp_eq_u64 s[22:23], 0
	s_waitcnt lgkmcnt(0)
	s_barrier
	s_cbranch_scc1 .LBB0_12
; %bb.11:
	s_load_dword s0, s[4:5], 0xd0
	s_mov_b32 s1, 0
	s_waitcnt lgkmcnt(0)
	s_mul_i32 s0, s0, s33
	s_add_i32 s0, s0, s6
	s_lshl_b64 s[0:1], s[0:1], 2
	s_add_u32 s0, s22, s0
	s_addc_u32 s1, s23, s1
	s_load_dword s34, s[0:1], 0x0
.LBB0_12:
	s_lshl_b32 s22, s7, 5
	s_waitcnt lgkmcnt(0)
	s_cmp_lt_i32 s22, s34
	v_mbcnt_lo_u32_b32 v20, -1, 0
	s_cbranch_scc1 .LBB0_14
; %bb.13:
	v_mbcnt_hi_u32_b32 v28, -1, v20
	v_and_b32_e32 v0, 0x60, v28
	s_mov_b32 s2, 0
	v_add_u32_e32 v29, 32, v0
	v_xor_b32_e32 v33, 16, v28
	v_xor_b32_e32 v34, 8, v28
	;; [unrolled: 1-line block ×5, first 2 shown]
	s_mov_b64 s[0:1], 0
	s_mov_b32 s3, 0xfeffffff
	s_branch .LBB0_15
.LBB0_14:
	s_mov_b64 s[0:1], -1
                                        ; implicit-def: $sgpr3
                                        ; implicit-def: $sgpr2
                                        ; implicit-def: $vgpr28
                                        ; implicit-def: $vgpr29
                                        ; implicit-def: $vgpr33
                                        ; implicit-def: $vgpr34
                                        ; implicit-def: $vgpr35
                                        ; implicit-def: $vgpr31
                                        ; implicit-def: $vgpr30
.LBB0_15:
	v_lshlrev_b32_e32 v9, 2, v4
	s_andn2_b64 vcc, exec, s[0:1]
	v_mov_b32_e32 v3, s3
	v_mov_b32_e32 v13, s2
	;; [unrolled: 1-line block ×16, first 2 shown]
	s_cbranch_vccnz .LBB0_18
; %bb.16:
	s_sub_i32 s0, 0, s38
	s_mul_i32 s0, s0, s40
	s_mul_hi_u32 s0, s40, s0
	s_add_i32 s40, s40, s0
	s_load_dwordx2 s[10:11], s[4:5], 0x8c
	s_load_dwordx4 s[0:3], s[4:5], 0x98
	s_abs_i32 s6, s35
	s_mul_hi_u32 s8, s6, s40
	s_ashr_i32 s18, s35, 31
	s_waitcnt lgkmcnt(0)
	s_ashr_i32 s28, s10, 2
	s_ashr_i32 s23, s2, 2
	;; [unrolled: 1-line block ×4, first 2 shown]
	s_mul_i32 s1, s33, s1
	s_mul_hi_u32 s10, s33, s0
	s_add_i32 s1, s10, s1
	s_mul_i32 s10, s9, s0
	s_ashr_i32 s19, s39, 31
	s_add_i32 s1, s1, s10
	s_mul_i32 s0, s33, s0
	s_add_u32 s0, s14, s0
	s_mul_i32 s14, s8, s38
	s_addc_u32 s1, s15, s1
	s_sub_i32 s6, s6, s14
	s_xor_b32 s10, s18, s19
	s_add_i32 s14, s8, 1
	s_sub_i32 s15, s6, s38
	s_cmp_ge_u32 s6, s38
	s_cselect_b32 s8, s14, s8
	s_cselect_b32 s6, s15, s6
	s_add_i32 s14, s8, 1
	s_cmp_ge_u32 s6, s38
	s_cselect_b32 s6, s14, s8
	s_load_dwordx2 s[12:13], s[4:5], 0xa8
	s_xor_b32 s6, s6, s10
	s_sub_i32 s6, s6, s10
	s_mul_i32 s8, s6, s11
	s_ashr_i32 s10, s8, 31
	s_add_u32 s0, s0, s8
	s_addc_u32 s1, s1, s10
	s_waitcnt lgkmcnt(0)
	s_mul_i32 s8, s33, s13
	s_mul_hi_u32 s10, s33, s12
	s_add_i32 s8, s10, s8
	s_mul_i32 s9, s9, s12
	v_lshrrev_b32_e32 v0, 3, v4
	s_add_i32 s8, s8, s9
	s_mul_i32 s9, s33, s12
	v_add_u32_e32 v0, v19, v0
	s_add_u32 s9, s16, s9
	s_mul_i32 s6, s6, s3
	v_and_b32_e32 v1, 28, v9
	v_mul_u32_u24_e32 v2, 0x90, v0
	v_mul_lo_u32 v0, s28, v0
	s_addc_u32 s8, s17, s8
	s_ashr_i32 s3, s6, 31
	v_lshlrev_b32_e32 v3, 2, v1
	v_ashrrev_i32_e32 v1, 31, v0
	s_add_u32 s6, s9, s6
	s_movk_i32 s9, 0x3000
	v_lshlrev_b64 v[0:1], 2, v[0:1]
	v_add3_u32 v36, v2, v3, s9
	v_mov_b32_e32 v2, s1
	v_add_co_u32_e32 v0, vcc, s0, v0
	v_addc_co_u32_e32 v1, vcc, v2, v1, vcc
	s_addc_u32 s3, s8, s3
	s_movk_i32 s8, 0x90
	v_add_co_u32_e32 v37, vcc, v0, v3
	v_mov_b32_e32 v0, 0x3000
	v_mad_u32_u24 v39, v4, s8, v0
	v_mov_b32_e32 v0, 0x4200
	v_addc_co_u32_e32 v38, vcc, 0, v1, vcc
	v_lshl_add_u32 v41, v18, 8, v0
	v_lshrrev_b32_e32 v0, 4, v4
	v_and_b32_e32 v1, 60, v9
	v_lshl_add_u32 v0, v18, 1, v0
	v_lshlrev_b32_e32 v3, 2, v1
	v_lshl_or_b32 v1, v0, 8, v3
	v_mul_lo_u32 v0, s23, v0
	v_add_u32_e32 v42, 0x3000, v1
	v_ashrrev_i32_e32 v1, 31, v0
	v_lshlrev_b64 v[0:1], 2, v[0:1]
	v_mov_b32_e32 v6, s3
	v_add_co_u32_e32 v0, vcc, s6, v0
	v_addc_co_u32_e32 v1, vcc, v6, v1, vcc
	v_add_co_u32_e32 v43, vcc, v0, v3
	v_mbcnt_hi_u32_b32 v28, -1, v20
	v_mad_u64_u32 v[16:17], s[0:1], v16, s2, v[4:5]
	v_lshlrev_b32_e32 v2, 3, v4
	v_addc_co_u32_e32 v44, vcc, 0, v1, vcc
	s_add_u32 s18, s4, 0xd0
	v_mov_b32_e32 v0, 0xfeffffff
	v_mov_b32_e32 v10, 0
	v_and_b32_e32 v1, 0x60, v28
	v_mul_u32_u24_e32 v40, 0x600, v18
	s_addc_u32 s19, s5, 0
	v_mov_b32_e32 v15, 0
	v_mov_b32_e32 v6, 0
	;; [unrolled: 1-line block ×3, first 2 shown]
	v_add_u32_e32 v29, 32, v1
	v_xor_b32_e32 v33, 16, v28
	v_xor_b32_e32 v34, 8, v28
	;; [unrolled: 1-line block ×5, first 2 shown]
	s_mov_b32 s6, 0x40051340
	s_mov_b32 s29, 0x3fb8aa3b
	;; [unrolled: 1-line block ×4, first 2 shown]
	v_mov_b32_e32 v46, 0x7f800000
	v_add_u32_e32 v47, v41, v2
	v_add_u32_e32 v48, 0x3000, v2
	v_add_u32_e32 v49, 0x3800, v2
	v_mov_b32_e32 v32, 0
	v_mov_b32_e32 v17, 0
	;; [unrolled: 1-line block ×12, first 2 shown]
.LBB0_17:                               ; =>This Inner Loop Header: Depth=1
	v_cmp_lt_i32_e32 vcc, v33, v29
	v_cndmask_b32_e32 v20, v28, v33, vcc
	v_cmp_lt_i32_e32 vcc, v34, v29
	v_cndmask_b32_e32 v21, v28, v34, vcc
	;; [unrolled: 2-line block ×3, first 2 shown]
	v_cmp_lt_i32_e32 vcc, v31, v29
	s_mul_hi_i32 s1, s22, s28
	s_mul_i32 s0, s22, s28
	v_cndmask_b32_e32 v23, v28, v31, vcc
	v_cmp_lt_i32_e32 vcc, v30, v29
	v_cndmask_b32_e32 v24, v28, v30, vcc
	s_lshl_b64 s[0:1], s[0:1], 2
	v_lshlrev_b32_e32 v57, 2, v21
	v_lshlrev_b32_e32 v54, 2, v24
	v_mov_b32_e32 v21, s1
	v_add_co_u32_e64 v24, s[0:1], s0, v37
	v_addc_co_u32_e64 v25, s[0:1], v38, v21, s[0:1]
	global_load_dwordx4 v[64:67], v[24:25], off
	v_mov_b32_e32 v52, v0
	v_mov_b32_e32 v0, 0
	;; [unrolled: 1-line block ×8, first 2 shown]
	v_add_u32_e32 v18, s22, v16
	v_ashrrev_i32_e32 v19, 31, v18
	v_lshlrev_b64 v[18:19], 1, v[18:19]
	v_lshlrev_b32_e32 v56, 2, v22
	v_add_co_u32_e64 v22, s[0:1], s36, v18
	v_lshlrev_b32_e32 v55, 2, v23
	v_addc_co_u32_e64 v23, s[0:1], v45, v19, s[0:1]
	s_mul_hi_i32 s3, s22, s23
	s_mul_i32 s2, s22, s23
	s_lshl_b64 s[2:3], s[2:3], 2
	v_lshlrev_b32_e32 v58, 2, v20
	v_mov_b32_e32 v63, s3
	v_add_co_u32_e32 v20, vcc, s2, v43
	v_addc_co_u32_e32 v21, vcc, v44, v63, vcc
	v_max_f32_e32 v59, v51, v51
	v_max_f32_e32 v60, v53, v53
	;; [unrolled: 1-line block ×4, first 2 shown]
	s_or_b32 s8, s22, 16
	s_mul_hi_i32 s9, s8, s23
	s_mul_i32 s8, s8, s23
	s_lshl_b64 s[2:3], s[8:9], 2
	v_mov_b32_e32 v19, s3
	v_add_co_u32_e32 v18, vcc, s2, v43
	v_addc_co_u32_e32 v19, vcc, v44, v19, vcc
	s_waitcnt vmcnt(0)
	ds_write_b128 v36, v[64:67]
	s_waitcnt lgkmcnt(0)
	s_barrier
	ds_read_b128 v[64:67], v39
	ds_read_b128 v[68:71], v40
	ds_read_b128 v[72:75], v40 offset:384
	ds_read_b128 v[76:79], v40 offset:768
	ds_read_b128 v[80:83], v40 offset:1152
	s_waitcnt lgkmcnt(3)
	;;#ASMSTART
	v_dot2_f32_f16 v0, v64, v68, v0
	;;#ASMEND
	;;#ASMSTART
	v_dot2_f32_f16 v0, v65, v69, v0
	;;#ASMEND
	;;#ASMSTART
	v_dot2_f32_f16 v0, v66, v70, v0
	;;#ASMEND
	;;#ASMSTART
	v_dot2_f32_f16 v0, v67, v71, v0
	;;#ASMEND
	s_waitcnt lgkmcnt(2)
	;;#ASMSTART
	v_dot2_f32_f16 v1, v64, v72, v1
	;;#ASMEND
	;;#ASMSTART
	v_dot2_f32_f16 v1, v65, v73, v1
	;;#ASMEND
	;;#ASMSTART
	v_dot2_f32_f16 v1, v66, v74, v1
	;;#ASMEND
	;;#ASMSTART
	v_dot2_f32_f16 v1, v67, v75, v1
	;;#ASMEND
	s_waitcnt lgkmcnt(1)
	;;#ASMSTART
	v_dot2_f32_f16 v2, v64, v76, v2
	;;#ASMEND
	;;#ASMSTART
	v_dot2_f32_f16 v2, v65, v77, v2
	;;#ASMEND
	;;#ASMSTART
	v_dot2_f32_f16 v2, v66, v78, v2
	;;#ASMEND
	;;#ASMSTART
	v_dot2_f32_f16 v2, v67, v79, v2
	;;#ASMEND
	s_waitcnt lgkmcnt(0)
	;;#ASMSTART
	v_dot2_f32_f16 v3, v64, v80, v3
	;;#ASMEND
	;;#ASMSTART
	v_dot2_f32_f16 v3, v65, v81, v3
	;;#ASMEND
	;;#ASMSTART
	v_dot2_f32_f16 v3, v66, v82, v3
	;;#ASMEND
	;;#ASMSTART
	v_dot2_f32_f16 v3, v67, v83, v3
	;;#ASMEND
	ds_read_b128 v[64:67], v39 offset:16
	ds_read_b128 v[68:71], v40 offset:16
	ds_read_b128 v[72:75], v40 offset:400
	ds_read_b128 v[76:79], v40 offset:784
	ds_read_b128 v[80:83], v40 offset:1168
	s_waitcnt lgkmcnt(3)
	;;#ASMSTART
	v_dot2_f32_f16 v0, v64, v68, v0
	;;#ASMEND
	;;#ASMSTART
	v_dot2_f32_f16 v0, v65, v69, v0
	;;#ASMEND
	;;#ASMSTART
	v_dot2_f32_f16 v0, v66, v70, v0
	;;#ASMEND
	;;#ASMSTART
	v_dot2_f32_f16 v0, v67, v71, v0
	;;#ASMEND
	s_waitcnt lgkmcnt(2)
	;;#ASMSTART
	v_dot2_f32_f16 v1, v64, v72, v1
	;;#ASMEND
	;;#ASMSTART
	v_dot2_f32_f16 v1, v65, v73, v1
	;;#ASMEND
	;;#ASMSTART
	v_dot2_f32_f16 v1, v66, v74, v1
	;;#ASMEND
	;;#ASMSTART
	v_dot2_f32_f16 v1, v67, v75, v1
	;;#ASMEND
	s_waitcnt lgkmcnt(1)
	;;#ASMSTART
	v_dot2_f32_f16 v2, v64, v76, v2
	;;#ASMEND
	;;#ASMSTART
	v_dot2_f32_f16 v2, v65, v77, v2
	;;#ASMEND
	;;#ASMSTART
	v_dot2_f32_f16 v2, v66, v78, v2
	;;#ASMEND
	;;#ASMSTART
	v_dot2_f32_f16 v2, v67, v79, v2
	;;#ASMEND
	s_waitcnt lgkmcnt(0)
	;;#ASMSTART
	v_dot2_f32_f16 v3, v64, v80, v3
	;;#ASMEND
	;;#ASMSTART
	v_dot2_f32_f16 v3, v65, v81, v3
	;;#ASMEND
	;;#ASMSTART
	v_dot2_f32_f16 v3, v66, v82, v3
	;;#ASMEND
	;;#ASMSTART
	v_dot2_f32_f16 v3, v67, v83, v3
	;;#ASMEND
	ds_read_b128 v[64:67], v39 offset:32
	ds_read_b128 v[68:71], v40 offset:32
	;; [unrolled: 57-line block ×7, first 2 shown]
	ds_read_b128 v[72:75], v40 offset:496
	ds_read_b128 v[76:79], v40 offset:880
	;; [unrolled: 1-line block ×3, first 2 shown]
	s_waitcnt lgkmcnt(3)
	;;#ASMSTART
	v_dot2_f32_f16 v0, v64, v68, v0
	;;#ASMEND
	;;#ASMSTART
	v_dot2_f32_f16 v0, v65, v69, v0
	;;#ASMEND
	;;#ASMSTART
	v_dot2_f32_f16 v0, v66, v70, v0
	;;#ASMEND
	;;#ASMSTART
	v_dot2_f32_f16 v0, v67, v71, v0
	;;#ASMEND
	s_waitcnt lgkmcnt(2)
	;;#ASMSTART
	v_dot2_f32_f16 v1, v64, v72, v1
	;;#ASMEND
	;;#ASMSTART
	v_dot2_f32_f16 v1, v65, v73, v1
	;;#ASMEND
	;;#ASMSTART
	v_dot2_f32_f16 v1, v66, v74, v1
	;;#ASMEND
	;;#ASMSTART
	v_dot2_f32_f16 v1, v67, v75, v1
	;;#ASMEND
	;; [unrolled: 13-line block ×4, first 2 shown]
	s_barrier
	global_load_dwordx4 v[64:67], v[24:25], off offset:128
	s_waitcnt vmcnt(0)
	ds_write_b128 v36, v[64:67]
	s_waitcnt lgkmcnt(0)
	s_barrier
	ds_read_b128 v[64:67], v39
	ds_read_b128 v[68:71], v40 offset:128
	ds_read_b128 v[72:75], v40 offset:512
	ds_read_b128 v[76:79], v40 offset:896
	ds_read_b128 v[80:83], v40 offset:1280
	s_waitcnt lgkmcnt(3)
	;;#ASMSTART
	v_dot2_f32_f16 v0, v64, v68, v0
	;;#ASMEND
	;;#ASMSTART
	v_dot2_f32_f16 v0, v65, v69, v0
	;;#ASMEND
	;;#ASMSTART
	v_dot2_f32_f16 v0, v66, v70, v0
	;;#ASMEND
	;;#ASMSTART
	v_dot2_f32_f16 v0, v67, v71, v0
	;;#ASMEND
	s_waitcnt lgkmcnt(2)
	;;#ASMSTART
	v_dot2_f32_f16 v1, v64, v72, v1
	;;#ASMEND
	;;#ASMSTART
	v_dot2_f32_f16 v1, v65, v73, v1
	;;#ASMEND
	;;#ASMSTART
	v_dot2_f32_f16 v1, v66, v74, v1
	;;#ASMEND
	;;#ASMSTART
	v_dot2_f32_f16 v1, v67, v75, v1
	;;#ASMEND
	s_waitcnt lgkmcnt(1)
	;;#ASMSTART
	v_dot2_f32_f16 v2, v64, v76, v2
	;;#ASMEND
	;;#ASMSTART
	v_dot2_f32_f16 v2, v65, v77, v2
	;;#ASMEND
	;;#ASMSTART
	v_dot2_f32_f16 v2, v66, v78, v2
	;;#ASMEND
	;;#ASMSTART
	v_dot2_f32_f16 v2, v67, v79, v2
	;;#ASMEND
	s_waitcnt lgkmcnt(0)
	;;#ASMSTART
	v_dot2_f32_f16 v3, v64, v80, v3
	;;#ASMEND
	;;#ASMSTART
	v_dot2_f32_f16 v3, v65, v81, v3
	;;#ASMEND
	;;#ASMSTART
	v_dot2_f32_f16 v3, v66, v82, v3
	;;#ASMEND
	;;#ASMSTART
	v_dot2_f32_f16 v3, v67, v83, v3
	;;#ASMEND
	ds_read_b128 v[64:67], v39 offset:16
	ds_read_b128 v[68:71], v40 offset:144
	ds_read_b128 v[72:75], v40 offset:528
	ds_read_b128 v[76:79], v40 offset:912
	ds_read_b128 v[80:83], v40 offset:1296
	s_waitcnt lgkmcnt(3)
	;;#ASMSTART
	v_dot2_f32_f16 v0, v64, v68, v0
	;;#ASMEND
	;;#ASMSTART
	v_dot2_f32_f16 v0, v65, v69, v0
	;;#ASMEND
	;;#ASMSTART
	v_dot2_f32_f16 v0, v66, v70, v0
	;;#ASMEND
	;;#ASMSTART
	v_dot2_f32_f16 v0, v67, v71, v0
	;;#ASMEND
	s_waitcnt lgkmcnt(2)
	;;#ASMSTART
	v_dot2_f32_f16 v1, v64, v72, v1
	;;#ASMEND
	;;#ASMSTART
	v_dot2_f32_f16 v1, v65, v73, v1
	;;#ASMEND
	;;#ASMSTART
	v_dot2_f32_f16 v1, v66, v74, v1
	;;#ASMEND
	;;#ASMSTART
	v_dot2_f32_f16 v1, v67, v75, v1
	;;#ASMEND
	s_waitcnt lgkmcnt(1)
	;;#ASMSTART
	v_dot2_f32_f16 v2, v64, v76, v2
	;;#ASMEND
	;;#ASMSTART
	v_dot2_f32_f16 v2, v65, v77, v2
	;;#ASMEND
	;;#ASMSTART
	v_dot2_f32_f16 v2, v66, v78, v2
	;;#ASMEND
	;;#ASMSTART
	v_dot2_f32_f16 v2, v67, v79, v2
	;;#ASMEND
	s_waitcnt lgkmcnt(0)
	;;#ASMSTART
	v_dot2_f32_f16 v3, v64, v80, v3
	;;#ASMEND
	;;#ASMSTART
	v_dot2_f32_f16 v3, v65, v81, v3
	;;#ASMEND
	;;#ASMSTART
	v_dot2_f32_f16 v3, v66, v82, v3
	;;#ASMEND
	;;#ASMSTART
	v_dot2_f32_f16 v3, v67, v83, v3
	;;#ASMEND
	ds_read_b128 v[64:67], v39 offset:32
	;; [unrolled: 57-line block ×7, first 2 shown]
	ds_read_b128 v[68:71], v40 offset:240
	ds_read_b128 v[72:75], v40 offset:624
	;; [unrolled: 1-line block ×4, first 2 shown]
	s_waitcnt lgkmcnt(3)
	;;#ASMSTART
	v_dot2_f32_f16 v0, v64, v68, v0
	;;#ASMEND
	;;#ASMSTART
	v_dot2_f32_f16 v0, v65, v69, v0
	;;#ASMEND
	;;#ASMSTART
	v_dot2_f32_f16 v0, v66, v70, v0
	;;#ASMEND
	;;#ASMSTART
	v_dot2_f32_f16 v0, v67, v71, v0
	;;#ASMEND
	s_waitcnt lgkmcnt(2)
	;;#ASMSTART
	v_dot2_f32_f16 v1, v64, v72, v1
	;;#ASMEND
	;;#ASMSTART
	v_dot2_f32_f16 v1, v65, v73, v1
	;;#ASMEND
	;;#ASMSTART
	v_dot2_f32_f16 v1, v66, v74, v1
	;;#ASMEND
	;;#ASMSTART
	v_dot2_f32_f16 v1, v67, v75, v1
	;;#ASMEND
	;; [unrolled: 13-line block ×4, first 2 shown]
	s_barrier
	global_load_dwordx4 v[64:67], v[24:25], off offset:256
	s_waitcnt vmcnt(0)
	ds_write_b128 v36, v[64:67]
	s_waitcnt lgkmcnt(0)
	s_barrier
	ds_read_b128 v[64:67], v39
	ds_read_b128 v[68:71], v40 offset:256
	ds_read_b128 v[72:75], v40 offset:640
	ds_read_b128 v[76:79], v40 offset:1024
	ds_read_b128 v[80:83], v40 offset:1408
	s_waitcnt lgkmcnt(3)
	;;#ASMSTART
	v_dot2_f32_f16 v0, v64, v68, v0
	;;#ASMEND
	;;#ASMSTART
	v_dot2_f32_f16 v0, v65, v69, v0
	;;#ASMEND
	;;#ASMSTART
	v_dot2_f32_f16 v0, v66, v70, v0
	;;#ASMEND
	;;#ASMSTART
	v_dot2_f32_f16 v0, v67, v71, v0
	;;#ASMEND
	s_waitcnt lgkmcnt(2)
	;;#ASMSTART
	v_dot2_f32_f16 v1, v64, v72, v1
	;;#ASMEND
	;;#ASMSTART
	v_dot2_f32_f16 v1, v65, v73, v1
	;;#ASMEND
	;;#ASMSTART
	v_dot2_f32_f16 v1, v66, v74, v1
	;;#ASMEND
	;;#ASMSTART
	v_dot2_f32_f16 v1, v67, v75, v1
	;;#ASMEND
	s_waitcnt lgkmcnt(1)
	;;#ASMSTART
	v_dot2_f32_f16 v2, v64, v76, v2
	;;#ASMEND
	;;#ASMSTART
	v_dot2_f32_f16 v2, v65, v77, v2
	;;#ASMEND
	;;#ASMSTART
	v_dot2_f32_f16 v2, v66, v78, v2
	;;#ASMEND
	;;#ASMSTART
	v_dot2_f32_f16 v2, v67, v79, v2
	;;#ASMEND
	s_waitcnt lgkmcnt(0)
	;;#ASMSTART
	v_dot2_f32_f16 v3, v64, v80, v3
	;;#ASMEND
	;;#ASMSTART
	v_dot2_f32_f16 v3, v65, v81, v3
	;;#ASMEND
	;;#ASMSTART
	v_dot2_f32_f16 v3, v66, v82, v3
	;;#ASMEND
	;;#ASMSTART
	v_dot2_f32_f16 v3, v67, v83, v3
	;;#ASMEND
	ds_read_b128 v[64:67], v39 offset:16
	ds_read_b128 v[68:71], v40 offset:272
	ds_read_b128 v[72:75], v40 offset:656
	ds_read_b128 v[76:79], v40 offset:1040
	ds_read_b128 v[80:83], v40 offset:1424
	s_waitcnt lgkmcnt(3)
	;;#ASMSTART
	v_dot2_f32_f16 v0, v64, v68, v0
	;;#ASMEND
	;;#ASMSTART
	v_dot2_f32_f16 v0, v65, v69, v0
	;;#ASMEND
	;;#ASMSTART
	v_dot2_f32_f16 v0, v66, v70, v0
	;;#ASMEND
	;;#ASMSTART
	v_dot2_f32_f16 v0, v67, v71, v0
	;;#ASMEND
	s_waitcnt lgkmcnt(2)
	;;#ASMSTART
	v_dot2_f32_f16 v1, v64, v72, v1
	;;#ASMEND
	;;#ASMSTART
	v_dot2_f32_f16 v1, v65, v73, v1
	;;#ASMEND
	;;#ASMSTART
	v_dot2_f32_f16 v1, v66, v74, v1
	;;#ASMEND
	;;#ASMSTART
	v_dot2_f32_f16 v1, v67, v75, v1
	;;#ASMEND
	s_waitcnt lgkmcnt(1)
	;;#ASMSTART
	v_dot2_f32_f16 v2, v64, v76, v2
	;;#ASMEND
	;;#ASMSTART
	v_dot2_f32_f16 v2, v65, v77, v2
	;;#ASMEND
	;;#ASMSTART
	v_dot2_f32_f16 v2, v66, v78, v2
	;;#ASMEND
	;;#ASMSTART
	v_dot2_f32_f16 v2, v67, v79, v2
	;;#ASMEND
	s_waitcnt lgkmcnt(0)
	;;#ASMSTART
	v_dot2_f32_f16 v3, v64, v80, v3
	;;#ASMEND
	;;#ASMSTART
	v_dot2_f32_f16 v3, v65, v81, v3
	;;#ASMEND
	;;#ASMSTART
	v_dot2_f32_f16 v3, v66, v82, v3
	;;#ASMEND
	;;#ASMSTART
	v_dot2_f32_f16 v3, v67, v83, v3
	;;#ASMEND
	ds_read_b128 v[64:67], v39 offset:32
	;; [unrolled: 57-line block ×7, first 2 shown]
	ds_read_b128 v[68:71], v40 offset:368
	ds_read_b128 v[72:75], v40 offset:752
	;; [unrolled: 1-line block ×4, first 2 shown]
	s_waitcnt lgkmcnt(3)
	;;#ASMSTART
	v_dot2_f32_f16 v0, v64, v68, v0
	;;#ASMEND
	;;#ASMSTART
	v_dot2_f32_f16 v0, v65, v69, v0
	;;#ASMEND
	;;#ASMSTART
	v_dot2_f32_f16 v0, v66, v70, v0
	;;#ASMEND
	;;#ASMSTART
	v_dot2_f32_f16 v0, v67, v71, v0
	;;#ASMEND
	s_waitcnt lgkmcnt(2)
	;;#ASMSTART
	v_dot2_f32_f16 v1, v64, v72, v1
	;;#ASMEND
	;;#ASMSTART
	v_dot2_f32_f16 v1, v65, v73, v1
	;;#ASMEND
	;;#ASMSTART
	v_dot2_f32_f16 v1, v66, v74, v1
	;;#ASMEND
	;;#ASMSTART
	v_dot2_f32_f16 v1, v67, v75, v1
	;;#ASMEND
	;; [unrolled: 13-line block ×4, first 2 shown]
	flat_load_ushort v24, v[22:23]
	s_waitcnt lgkmcnt(0)
	s_barrier
	global_load_dwordx4 v[20:23], v[20:21], off
	s_waitcnt vmcnt(0)
	v_cvt_f32_f16_e32 v24, v24
	v_pk_add_f32 v[64:65], v[2:3], v[24:25] op_sel_hi:[1,0]
	v_pk_add_f32 v[24:25], v[0:1], v[24:25] op_sel_hi:[1,0]
	v_pk_add_f32 v[0:1], v[24:25], s[6:7] op_sel_hi:[1,0]
	v_pk_add_f32 v[2:3], v[64:65], s[6:7] op_sel_hi:[1,0]
	v_max_f32_e32 v3, v59, v3
	v_max_f32_e32 v2, v60, v2
	v_max_f32_e32 v1, v61, v1
	v_max_f32_e32 v0, v62, v0
	ds_bpermute_b32 v59, v58, v3
	ds_bpermute_b32 v60, v58, v2
	ds_bpermute_b32 v61, v58, v1
	ds_bpermute_b32 v58, v58, v0
	s_waitcnt lgkmcnt(3)
	v_max_f32_e32 v59, v59, v59
	s_waitcnt lgkmcnt(2)
	v_max_f32_e32 v60, v60, v60
	s_waitcnt lgkmcnt(1)
	v_max_f32_e32 v61, v61, v61
	s_waitcnt lgkmcnt(0)
	v_max_f32_e32 v58, v58, v58
	v_max_f32_e32 v3, v3, v59
	v_max_f32_e32 v2, v2, v60
	v_max_f32_e32 v1, v1, v61
	v_max_f32_e32 v0, v0, v58
	ds_bpermute_b32 v58, v57, v3
	ds_bpermute_b32 v59, v57, v2
	ds_bpermute_b32 v60, v57, v1
	ds_bpermute_b32 v57, v57, v0
	s_waitcnt lgkmcnt(3)
	v_max_f32_e32 v58, v58, v58
	s_waitcnt lgkmcnt(2)
	v_max_f32_e32 v59, v59, v59
	s_waitcnt lgkmcnt(1)
	v_max_f32_e32 v60, v60, v60
	s_waitcnt lgkmcnt(0)
	v_max_f32_e32 v57, v57, v57
	;; [unrolled: 16-line block ×5, first 2 shown]
	v_max_f32_e32 v0, v0, v55
	v_max_f32_e32 v1, v1, v56
	;; [unrolled: 1-line block ×4, first 2 shown]
	v_sub_f32_e32 v54, v65, v3
	v_sub_f32_e32 v55, v64, v2
	;; [unrolled: 1-line block ×8, first 2 shown]
	v_mul_f32_e32 v56, 0x3fb8aa3b, v24
	v_mul_f32_e32 v57, 0x3fb8aa3b, v25
	v_mul_f32_e32 v58, 0x3fb8aa3b, v55
	v_mul_f32_e32 v59, 0x3fb8aa3b, v54
	v_mul_f32_e32 v60, 0x3fb8aa3b, v50
	v_mul_f32_e32 v61, 0x3fb8aa3b, v52
	v_mul_f32_e32 v62, 0x3fb8aa3b, v51
	v_mul_f32_e32 v63, 0x3fb8aa3b, v53
	v_fma_f32 v64, v24, s29, -v56
	v_rndne_f32_e32 v65, v56
	v_fma_f32 v66, v25, s29, -v57
	v_rndne_f32_e32 v67, v57
	;; [unrolled: 2-line block ×8, first 2 shown]
	v_fmac_f32_e32 v64, 0x32a5705f, v24
	v_sub_f32_e32 v56, v56, v65
	v_fmac_f32_e32 v66, 0x32a5705f, v25
	v_sub_f32_e32 v57, v57, v67
	;; [unrolled: 2-line block ×8, first 2 shown]
	v_add_f32_e32 v56, v56, v64
	v_add_f32_e32 v57, v57, v66
	;; [unrolled: 1-line block ×4, first 2 shown]
	v_cvt_i32_f32_e32 v65, v65
	v_cvt_i32_f32_e32 v67, v67
	;; [unrolled: 1-line block ×4, first 2 shown]
	v_add_f32_e32 v60, v60, v72
	v_add_f32_e32 v61, v61, v74
	;; [unrolled: 1-line block ×4, first 2 shown]
	v_exp_f32_e32 v56, v56
	v_exp_f32_e32 v57, v57
	;; [unrolled: 1-line block ×4, first 2 shown]
	v_cvt_i32_f32_e32 v73, v73
	v_cvt_i32_f32_e32 v75, v75
	;; [unrolled: 1-line block ×4, first 2 shown]
	v_exp_f32_e32 v60, v60
	v_exp_f32_e32 v61, v61
	;; [unrolled: 1-line block ×4, first 2 shown]
	v_ldexp_f32 v56, v56, v65
	v_ldexp_f32 v57, v57, v67
	v_cmp_ngt_f32_e32 vcc, s37, v25
	v_ldexp_f32 v58, v58, v69
	v_cmp_ngt_f32_e64 s[0:1], s37, v55
	v_ldexp_f32 v59, v59, v71
	v_cmp_ngt_f32_e64 s[2:3], s37, v54
	v_cmp_ngt_f32_e64 s[16:17], s37, v24
	v_ldexp_f32 v60, v60, v73
	v_cmp_ngt_f32_e64 s[8:9], s37, v50
	v_ldexp_f32 v61, v61, v75
	v_cmp_ngt_f32_e64 s[10:11], s37, v52
	v_ldexp_f32 v62, v62, v77
	v_cmp_ngt_f32_e64 s[12:13], s37, v51
	v_ldexp_f32 v63, v63, v79
	v_cmp_ngt_f32_e64 s[14:15], s37, v53
	v_cndmask_b32_e64 v56, 0, v56, s[16:17]
	v_cndmask_b32_e32 v57, 0, v57, vcc
	v_cmp_nlt_f32_e32 vcc, s38, v25
	v_cndmask_b32_e64 v58, 0, v58, s[0:1]
	v_cmp_nlt_f32_e64 s[0:1], s38, v55
	v_cndmask_b32_e64 v55, 0, v59, s[2:3]
	v_cmp_nlt_f32_e64 s[2:3], s38, v54
	v_cmp_nlt_f32_e64 s[16:17], s38, v24
	v_cndmask_b32_e64 v54, 0, v60, s[8:9]
	v_cmp_nlt_f32_e64 s[8:9], s38, v50
	v_cndmask_b32_e64 v59, 0, v61, s[10:11]
	;; [unrolled: 2-line block ×5, first 2 shown]
	v_cndmask_b32_e32 v25, v46, v57, vcc
	v_cndmask_b32_e64 v50, v46, v58, s[0:1]
	v_cndmask_b32_e64 v51, v46, v55, s[2:3]
	v_cndmask_b32_e64 v53, v46, v54, s[8:9]
	v_cndmask_b32_e64 v52, v46, v59, s[10:11]
	v_cndmask_b32_e64 v55, v46, v60, s[12:13]
	v_cndmask_b32_e64 v54, v46, v61, s[14:15]
	v_cvt_f16_f32_e32 v56, v51
	v_cvt_f16_f32_e32 v57, v50
	;; [unrolled: 1-line block ×4, first 2 shown]
	v_pk_fma_f32 v[12:13], v[12:13], v[54:55], v[50:51]
	v_cvt_f16_f32_e32 v50, v55
	v_pk_fma_f32 v[10:11], v[10:11], v[52:53], v[24:25]
	v_pack_b32_f16 v25, v57, v56
	v_pack_b32_f16 v24, v59, v58
	v_cvt_f16_f32_e32 v114, v52
	v_cvt_f16_f32_e32 v115, v53
	;; [unrolled: 1-line block ×3, first 2 shown]
	v_pk_mul_f16 v17, v50, v17 op_sel_hi:[0,1]
	v_pk_mul_f16 v15, v50, v15 op_sel_hi:[0,1]
	ds_write_b64 v47, v[24:25]
	ds_write_b128 v42, v[20:23]
	s_waitcnt lgkmcnt(0)
	s_barrier
	ds_read2_b64 v[20:23], v48 offset1:32
	ds_read_b128 v[50:53], v41
	ds_read_b128 v[54:57], v41 offset:16
	ds_read_b128 v[58:61], v41 offset:32
	;; [unrolled: 1-line block ×3, first 2 shown]
	ds_read2_b64 v[66:69], v48 offset0:64 offset1:96
	ds_read2_b64 v[70:73], v48 offset0:128 offset1:160
	;; [unrolled: 1-line block ×3, first 2 shown]
	ds_read2_b64 v[78:81], v49 offset1:32
	ds_read2_b64 v[82:85], v49 offset0:64 offset1:96
	ds_read_b128 v[86:89], v41 offset:64
	ds_read_b128 v[90:93], v41 offset:80
	ds_read2_b64 v[94:97], v49 offset0:128 offset1:160
	ds_read2_b64 v[98:101], v49 offset0:192 offset1:224
	ds_read_b128 v[102:105], v41 offset:96
	ds_read_b128 v[106:109], v41 offset:112
	s_waitcnt lgkmcnt(0)
	s_barrier
	global_load_dwordx4 v[110:113], v[18:19], off
	v_pk_mul_f16 v14, v114, v14 op_sel_hi:[0,1]
	v_pk_mul_f16 v8, v115, v8 op_sel_hi:[0,1]
	;; [unrolled: 1-line block ×4, first 2 shown]
	v_pk_mul_f16 v19, v20, v50 op_sel:[0,1]
	v_pk_mul_f16 v24, v20, v51 op_sel_hi:[1,0]
	v_pk_fma_f16 v17, v20, v51, v17 op_sel:[0,1,0]
	v_pk_fma_f16 v14, v21, v50, v14 op_sel_hi:[1,0,1]
	v_pk_fma_f16 v8, v21, v50, v8 op_sel:[0,1,0]
	v_pk_fma_f16 v6, v21, v51, v6 op_sel_hi:[1,0,1]
	;; [unrolled: 2-line block ×3, first 2 shown]
	v_pk_fma_f16 v19, v115, v27, v19 op_sel_hi:[0,1,1]
	v_pk_fma_f16 v20, v116, v26, v24 op_sel_hi:[0,1,1]
	v_pk_fma_f16 v17, v22, v53, v17 op_sel:[0,1,0]
	v_pk_fma_f16 v14, v23, v52, v14 op_sel_hi:[1,0,1]
	v_pk_fma_f16 v8, v23, v52, v8 op_sel:[0,1,0]
	;; [unrolled: 2-line block ×60, first 2 shown]
	v_pk_fma_f16 v32, v100, v109, v20 op_sel_hi:[1,0,1]
	s_waitcnt vmcnt(0)
	ds_write_b128 v42, v[110:113]
	s_waitcnt lgkmcnt(0)
	s_barrier
	ds_read2_b64 v[18:21], v48 offset1:32
	ds_read_b128 v[22:25], v41 offset:128
	ds_read_b128 v[50:53], v41 offset:144
	;; [unrolled: 1-line block ×4, first 2 shown]
	ds_read2_b64 v[62:65], v48 offset0:64 offset1:96
	ds_read2_b64 v[66:69], v48 offset0:128 offset1:160
	;; [unrolled: 1-line block ×3, first 2 shown]
	ds_read2_b64 v[74:77], v49 offset1:32
	ds_read2_b64 v[78:81], v49 offset0:64 offset1:96
	ds_read_b128 v[82:85], v41 offset:192
	ds_read_b128 v[86:89], v41 offset:208
	ds_read2_b64 v[90:93], v49 offset0:128 offset1:160
	ds_read2_b64 v[94:97], v49 offset0:192 offset1:224
	ds_read_b128 v[98:101], v41 offset:224
	ds_read_b128 v[102:105], v41 offset:240
	s_waitcnt lgkmcnt(14)
	v_pk_fma_f16 v26, v18, v22, v26 op_sel_hi:[1,0,1]
	v_pk_fma_f16 v27, v18, v22, v27 op_sel:[0,1,0]
	v_pk_fma_f16 v32, v18, v23, v32 op_sel_hi:[1,0,1]
	v_pk_fma_f16 v17, v18, v23, v17 op_sel:[0,1,0]
	v_pk_fma_f16 v14, v19, v22, v14 op_sel_hi:[1,0,1]
	v_pk_fma_f16 v8, v19, v22, v8 op_sel:[0,1,0]
	v_pk_fma_f16 v6, v19, v23, v6 op_sel_hi:[1,0,1]
	v_pk_fma_f16 v15, v19, v23, v15 op_sel:[0,1,0]
	v_pk_fma_f16 v18, v20, v24, v26 op_sel_hi:[1,0,1]
	v_pk_fma_f16 v19, v20, v24, v27 op_sel:[0,1,0]
	v_pk_fma_f16 v22, v20, v25, v32 op_sel_hi:[1,0,1]
	v_pk_fma_f16 v17, v20, v25, v17 op_sel:[0,1,0]
	v_pk_fma_f16 v14, v21, v24, v14 op_sel_hi:[1,0,1]
	v_pk_fma_f16 v8, v21, v24, v8 op_sel:[0,1,0]
	v_pk_fma_f16 v6, v21, v25, v6 op_sel_hi:[1,0,1]
	v_pk_fma_f16 v15, v21, v25, v15 op_sel:[0,1,0]
	s_waitcnt lgkmcnt(10)
	v_pk_fma_f16 v18, v62, v50, v18 op_sel_hi:[1,0,1]
	v_pk_fma_f16 v19, v62, v50, v19 op_sel:[0,1,0]
	v_pk_fma_f16 v20, v62, v51, v22 op_sel_hi:[1,0,1]
	v_pk_fma_f16 v17, v62, v51, v17 op_sel:[0,1,0]
	v_pk_fma_f16 v14, v63, v50, v14 op_sel_hi:[1,0,1]
	v_pk_fma_f16 v8, v63, v50, v8 op_sel:[0,1,0]
	v_pk_fma_f16 v6, v63, v51, v6 op_sel_hi:[1,0,1]
	v_pk_fma_f16 v15, v63, v51, v15 op_sel:[0,1,0]
	v_pk_fma_f16 v18, v64, v52, v18 op_sel_hi:[1,0,1]
	v_pk_fma_f16 v19, v64, v52, v19 op_sel:[0,1,0]
	v_pk_fma_f16 v20, v64, v53, v20 op_sel_hi:[1,0,1]
	v_pk_fma_f16 v17, v64, v53, v17 op_sel:[0,1,0]
	v_pk_fma_f16 v14, v65, v52, v14 op_sel_hi:[1,0,1]
	v_pk_fma_f16 v8, v65, v52, v8 op_sel:[0,1,0]
	v_pk_fma_f16 v6, v65, v53, v6 op_sel_hi:[1,0,1]
	v_pk_fma_f16 v15, v65, v53, v15 op_sel:[0,1,0]
	s_waitcnt lgkmcnt(9)
	v_pk_fma_f16 v18, v66, v54, v18 op_sel_hi:[1,0,1]
	v_pk_fma_f16 v19, v66, v54, v19 op_sel:[0,1,0]
	v_pk_fma_f16 v20, v66, v55, v20 op_sel_hi:[1,0,1]
	v_pk_fma_f16 v17, v66, v55, v17 op_sel:[0,1,0]
	v_pk_fma_f16 v14, v67, v54, v14 op_sel_hi:[1,0,1]
	v_pk_fma_f16 v8, v67, v54, v8 op_sel:[0,1,0]
	v_pk_fma_f16 v6, v67, v55, v6 op_sel_hi:[1,0,1]
	v_pk_fma_f16 v15, v67, v55, v15 op_sel:[0,1,0]
	v_pk_fma_f16 v18, v68, v56, v18 op_sel_hi:[1,0,1]
	v_pk_fma_f16 v19, v68, v56, v19 op_sel:[0,1,0]
	v_pk_fma_f16 v20, v68, v57, v20 op_sel_hi:[1,0,1]
	v_pk_fma_f16 v17, v68, v57, v17 op_sel:[0,1,0]
	v_pk_fma_f16 v14, v69, v56, v14 op_sel_hi:[1,0,1]
	v_pk_fma_f16 v8, v69, v56, v8 op_sel:[0,1,0]
	v_pk_fma_f16 v6, v69, v57, v6 op_sel_hi:[1,0,1]
	v_pk_fma_f16 v15, v69, v57, v15 op_sel:[0,1,0]
	s_waitcnt lgkmcnt(8)
	v_pk_fma_f16 v18, v70, v58, v18 op_sel_hi:[1,0,1]
	v_pk_fma_f16 v19, v70, v58, v19 op_sel:[0,1,0]
	v_pk_fma_f16 v20, v70, v59, v20 op_sel_hi:[1,0,1]
	v_pk_fma_f16 v17, v70, v59, v17 op_sel:[0,1,0]
	v_pk_fma_f16 v14, v71, v58, v14 op_sel_hi:[1,0,1]
	v_pk_fma_f16 v8, v71, v58, v8 op_sel:[0,1,0]
	v_pk_fma_f16 v6, v71, v59, v6 op_sel_hi:[1,0,1]
	v_pk_fma_f16 v15, v71, v59, v15 op_sel:[0,1,0]
	v_pk_fma_f16 v18, v72, v60, v18 op_sel_hi:[1,0,1]
	v_pk_fma_f16 v19, v72, v60, v19 op_sel:[0,1,0]
	v_pk_fma_f16 v20, v72, v61, v20 op_sel_hi:[1,0,1]
	v_pk_fma_f16 v17, v72, v61, v17 op_sel:[0,1,0]
	v_pk_fma_f16 v14, v73, v60, v14 op_sel_hi:[1,0,1]
	v_pk_fma_f16 v8, v73, v60, v8 op_sel:[0,1,0]
	v_pk_fma_f16 v6, v73, v61, v6 op_sel_hi:[1,0,1]
	v_pk_fma_f16 v15, v73, v61, v15 op_sel:[0,1,0]
	s_waitcnt lgkmcnt(0)
	s_barrier
	s_load_dword s0, s[18:19], 0x4
	v_pk_fma_f16 v18, v74, v82, v18 op_sel_hi:[1,0,1]
	v_pk_fma_f16 v19, v74, v82, v19 op_sel:[0,1,0]
	v_pk_fma_f16 v20, v74, v83, v20 op_sel_hi:[1,0,1]
	v_pk_fma_f16 v17, v74, v83, v17 op_sel:[0,1,0]
	;; [unrolled: 2-line block ×20, first 2 shown]
	s_waitcnt lgkmcnt(0)
	s_lshl_b32 s0, s0, 5
	v_pk_fma_f16 v18, v92, v100, v18 op_sel_hi:[1,0,1]
	v_pk_fma_f16 v19, v92, v100, v19 op_sel:[0,1,0]
	v_pk_fma_f16 v20, v92, v101, v20 op_sel_hi:[1,0,1]
	v_pk_fma_f16 v17, v92, v101, v17 op_sel:[0,1,0]
	;; [unrolled: 2-line block ×4, first 2 shown]
	s_add_i32 s22, s0, s22
	v_pk_fma_f16 v18, v94, v102, v18 op_sel_hi:[1,0,1]
	v_pk_fma_f16 v19, v94, v102, v19 op_sel:[0,1,0]
	v_pk_fma_f16 v20, v94, v103, v20 op_sel_hi:[1,0,1]
	v_pk_fma_f16 v17, v94, v103, v17 op_sel:[0,1,0]
	v_pk_fma_f16 v14, v95, v102, v14 op_sel_hi:[1,0,1]
	v_pk_fma_f16 v8, v95, v102, v8 op_sel:[0,1,0]
	v_pk_fma_f16 v6, v95, v103, v6 op_sel_hi:[1,0,1]
	v_pk_fma_f16 v15, v95, v103, v15 op_sel:[0,1,0]
	s_cmp_ge_i32 s22, s34
	v_pk_fma_f16 v32, v96, v104, v18 op_sel_hi:[1,0,1]
	v_pk_fma_f16 v27, v96, v104, v19 op_sel:[0,1,0]
	v_pk_fma_f16 v26, v96, v105, v20 op_sel_hi:[1,0,1]
	v_pk_fma_f16 v17, v96, v105, v17 op_sel:[0,1,0]
	;; [unrolled: 2-line block ×4, first 2 shown]
	s_cbranch_scc0 .LBB0_17
.LBB0_18:
	v_cmp_lt_i32_e32 vcc, v33, v29
	v_cndmask_b32_e32 v16, v28, v33, vcc
	v_cmp_lt_i32_e32 vcc, v34, v29
	v_cndmask_b32_e32 v18, v28, v34, vcc
	v_cmp_lt_i32_e32 vcc, v35, v29
	v_lshlrev_b32_e32 v16, 2, v16
	v_lshlrev_b32_e32 v22, 2, v18
	v_cndmask_b32_e32 v18, v28, v35, vcc
	v_lshlrev_b32_e32 v23, 2, v18
	ds_bpermute_b32 v18, v16, v10
	ds_bpermute_b32 v19, v16, v11
	;; [unrolled: 1-line block ×4, first 2 shown]
	v_cmp_lt_i32_e32 vcc, v31, v29
	v_cndmask_b32_e32 v16, v28, v31, vcc
	s_waitcnt lgkmcnt(2)
	v_pk_add_f32 v[10:11], v[10:11], v[18:19]
	ds_bpermute_b32 v18, v22, v10
	s_waitcnt lgkmcnt(1)
	v_pk_add_f32 v[12:13], v[12:13], v[20:21]
	ds_bpermute_b32 v19, v22, v11
	ds_bpermute_b32 v20, v22, v12
	;; [unrolled: 1-line block ×3, first 2 shown]
	v_lshlrev_b32_e32 v16, 2, v16
	v_cmp_lt_i32_e32 vcc, v30, v29
	s_waitcnt lgkmcnt(2)
	v_pk_add_f32 v[10:11], v[10:11], v[18:19]
	ds_bpermute_b32 v18, v23, v10
	s_waitcnt lgkmcnt(1)
	v_pk_add_f32 v[12:13], v[12:13], v[20:21]
	ds_bpermute_b32 v19, v23, v11
	ds_bpermute_b32 v20, v23, v12
	;; [unrolled: 1-line block ×3, first 2 shown]
	v_cndmask_b32_e32 v22, v28, v30, vcc
	s_cmp_lg_u64 s[20:21], 0
	s_waitcnt lgkmcnt(2)
	v_pk_add_f32 v[10:11], v[10:11], v[18:19]
	ds_bpermute_b32 v18, v16, v10
	s_waitcnt lgkmcnt(1)
	v_pk_add_f32 v[12:13], v[12:13], v[20:21]
	ds_bpermute_b32 v19, v16, v11
	ds_bpermute_b32 v20, v16, v12
	;; [unrolled: 1-line block ×3, first 2 shown]
	v_lshlrev_b32_e32 v16, 2, v22
	s_cselect_b64 s[0:1], -1, 0
	s_waitcnt lgkmcnt(2)
	v_pk_add_f32 v[10:11], v[10:11], v[18:19]
	ds_bpermute_b32 v18, v16, v10
	s_waitcnt lgkmcnt(1)
	v_pk_add_f32 v[20:21], v[12:13], v[20:21]
	ds_bpermute_b32 v19, v16, v11
	ds_bpermute_b32 v22, v16, v20
	;; [unrolled: 1-line block ×3, first 2 shown]
	s_cmp_eq_u32 s7, 0
	s_cselect_b64 s[2:3], -1, 0
	s_and_b64 s[0:1], s[2:3], s[0:1]
	s_waitcnt lgkmcnt(2)
	v_pk_add_f32 v[12:13], v[10:11], v[18:19]
	s_waitcnt lgkmcnt(0)
	v_pk_add_f32 v[10:11], v[20:21], v[22:23]
	s_and_b64 vcc, exec, s[0:1]
	s_cbranch_vccz .LBB0_20
; %bb.19:
	v_add_u32_e32 v18, s35, v7
	v_ashrrev_i32_e32 v19, 31, v18
	v_lshlrev_b64 v[18:19], 2, v[18:19]
	v_mov_b32_e32 v16, s21
	v_add_co_u32_e32 v18, vcc, s20, v18
	v_addc_co_u32_e32 v19, vcc, v16, v19, vcc
	global_load_dwordx4 v[18:21], v[18:19], off
	v_max_f32_e32 v16, v1, v1
	v_max_f32_e32 v22, v0, v0
	;; [unrolled: 1-line block ×4, first 2 shown]
	s_mov_b32 s2, 0x3fb8aa3b
	s_mov_b32 s0, 0xc2ce8ed0
	;; [unrolled: 1-line block ×3, first 2 shown]
	v_mov_b32_e32 v28, 0x7f800000
	s_waitcnt vmcnt(0)
	v_max_f32_e32 v23, v19, v19
	v_max_f32_e32 v25, v18, v18
	;; [unrolled: 1-line block ×6, first 2 shown]
	v_pk_add_f32 v[0:1], v[0:1], v[22:23] neg_lo:[0,1] neg_hi:[0,1]
	v_max_f32_e32 v25, v24, v30
	v_max_f32_e32 v24, v29, v31
	v_mul_f32_e32 v16, 0x3fb8aa3b, v1
	v_pk_add_f32 v[2:3], v[2:3], v[24:25] neg_lo:[0,1] neg_hi:[0,1]
	v_mul_f32_e32 v29, 0x3fb8aa3b, v0
	v_fma_f32 v35, v1, s2, -v16
	v_rndne_f32_e32 v36, v16
	v_mul_f32_e32 v30, 0x3fb8aa3b, v3
	v_fma_f32 v37, v0, s2, -v29
	v_rndne_f32_e32 v38, v29
	v_fmac_f32_e32 v35, 0x32a5705f, v1
	v_sub_f32_e32 v16, v16, v36
	v_mul_f32_e32 v31, 0x3fb8aa3b, v2
	v_fma_f32 v39, v3, s2, -v30
	v_rndne_f32_e32 v40, v30
	v_fmac_f32_e32 v37, 0x32a5705f, v0
	v_sub_f32_e32 v29, v29, v38
	v_add_f32_e32 v16, v16, v35
	v_fma_f32 v41, v2, s2, -v31
	v_rndne_f32_e32 v42, v31
	v_cvt_i32_f32_e32 v36, v36
	v_fmac_f32_e32 v39, 0x32a5705f, v3
	v_sub_f32_e32 v30, v30, v40
	v_add_f32_e32 v29, v29, v37
	v_exp_f32_e32 v16, v16
	v_cvt_i32_f32_e32 v38, v38
	v_fmac_f32_e32 v41, 0x32a5705f, v2
	v_sub_f32_e32 v31, v31, v42
	v_add_f32_e32 v30, v30, v39
	v_exp_f32_e32 v29, v29
	v_cvt_i32_f32_e32 v40, v40
	v_add_f32_e32 v31, v31, v41
	v_exp_f32_e32 v30, v30
	v_cvt_i32_f32_e32 v42, v42
	v_exp_f32_e32 v31, v31
	v_ldexp_f32 v16, v16, v36
	v_cmp_ngt_f32_e32 vcc, s0, v1
	v_ldexp_f32 v29, v29, v38
	v_cndmask_b32_e32 v16, 0, v16, vcc
	v_cmp_ngt_f32_e32 vcc, s0, v0
	v_ldexp_f32 v30, v30, v40
	v_cndmask_b32_e32 v29, 0, v29, vcc
	;; [unrolled: 3-line block ×3, first 2 shown]
	v_cmp_ngt_f32_e32 vcc, s0, v2
	v_cndmask_b32_e32 v31, 0, v31, vcc
	v_cmp_nlt_f32_e32 vcc, s1, v1
	v_cndmask_b32_e32 v1, v28, v16, vcc
	v_cmp_nlt_f32_e32 vcc, s1, v0
	;; [unrolled: 2-line block ×4, first 2 shown]
	v_cndmask_b32_e32 v2, v28, v31, vcc
	v_cvt_f16_f32_e32 v16, v0
	v_cvt_f16_f32_e32 v29, v1
	v_pk_add_f32 v[20:21], v[20:21], v[24:25] neg_lo:[0,1] neg_hi:[0,1]
	v_cvt_f16_f32_e32 v30, v2
	v_mul_f32_e32 v33, 0x3fb8aa3b, v21
	v_mul_f32_e32 v34, 0x3fb8aa3b, v20
	v_fma_f32 v43, v21, s2, -v33
	v_rndne_f32_e32 v44, v33
	v_fmac_f32_e32 v43, 0x32a5705f, v21
	v_sub_f32_e32 v33, v33, v44
	v_pk_mul_f16 v32, v16, v32 op_sel_hi:[0,1]
	v_pk_mul_f16 v14, v16, v14 op_sel_hi:[0,1]
	;; [unrolled: 1-line block ×4, first 2 shown]
	v_fma_f32 v16, v20, s2, -v34
	v_rndne_f32_e32 v29, v34
	v_add_f32_e32 v33, v33, v43
	v_pk_mul_f16 v26, v30, v26 op_sel_hi:[0,1]
	v_pk_mul_f16 v6, v30, v6 op_sel_hi:[0,1]
	v_fmac_f32_e32 v16, 0x32a5705f, v20
	v_sub_f32_e32 v30, v34, v29
	v_cvt_i32_f32_e32 v44, v44
	v_exp_f32_e32 v33, v33
	v_add_f32_e32 v16, v30, v16
	v_exp_f32_e32 v16, v16
	v_cvt_i32_f32_e32 v29, v29
	v_cvt_f16_f32_e32 v31, v3
	v_pk_add_f32 v[18:19], v[18:19], v[22:23] neg_lo:[0,1] neg_hi:[0,1]
	v_ldexp_f32 v33, v33, v44
	v_cmp_ngt_f32_e32 vcc, s0, v21
	v_cndmask_b32_e32 v30, 0, v33, vcc
	v_cmp_nlt_f32_e32 vcc, s1, v21
	v_ldexp_f32 v16, v16, v29
	v_mul_f32_e32 v29, 0x3fb8aa3b, v19
	v_pk_mul_f16 v17, v31, v17 op_sel_hi:[0,1]
	v_pk_mul_f16 v15, v31, v15 op_sel_hi:[0,1]
	v_cndmask_b32_e32 v21, v28, v30, vcc
	v_fma_f32 v30, v19, s2, -v29
	v_rndne_f32_e32 v31, v29
	v_fmac_f32_e32 v30, 0x32a5705f, v19
	v_sub_f32_e32 v29, v29, v31
	v_add_f32_e32 v29, v29, v30
	v_exp_f32_e32 v29, v29
	v_cvt_i32_f32_e32 v30, v31
	v_cmp_ngt_f32_e32 vcc, s0, v20
	v_cndmask_b32_e32 v16, 0, v16, vcc
	v_cmp_nlt_f32_e32 vcc, s1, v20
	v_cndmask_b32_e32 v20, v28, v16, vcc
	v_ldexp_f32 v16, v29, v30
	v_mul_f32_e32 v29, 0x3fb8aa3b, v18
	v_fma_f32 v30, v18, s2, -v29
	v_rndne_f32_e32 v31, v29
	v_fmac_f32_e32 v30, 0x32a5705f, v18
	v_sub_f32_e32 v29, v29, v31
	v_add_f32_e32 v29, v29, v30
	v_exp_f32_e32 v29, v29
	v_cvt_i32_f32_e32 v30, v31
	v_cmp_ngt_f32_e32 vcc, s0, v19
	v_cndmask_b32_e32 v16, 0, v16, vcc
	v_cmp_nlt_f32_e32 vcc, s1, v19
	v_cndmask_b32_e32 v19, v28, v16, vcc
	v_ldexp_f32 v16, v29, v30
	v_cmp_ngt_f32_e32 vcc, s0, v18
	v_cndmask_b32_e32 v16, 0, v16, vcc
	v_cmp_nlt_f32_e32 vcc, s1, v18
	v_cndmask_b32_e32 v18, v28, v16, vcc
	v_pk_fma_f32 v[10:11], v[10:11], v[2:3], v[20:21]
	v_pk_fma_f32 v[12:13], v[12:13], v[0:1], v[18:19]
	v_pk_mov_b32 v[0:1], v[22:23], v[22:23] op_sel:[0,1]
	v_pk_mov_b32 v[2:3], v[24:25], v[24:25] op_sel:[0,1]
.LBB0_20:
	v_cmp_gt_i32_e32 vcc, s30, v5
	s_and_saveexec_b64 s[0:1], vcc
	s_cbranch_execz .LBB0_37
; %bb.21:
	s_load_dword s6, s[4:5], 0xd4
	v_mov_b32_e32 v16, 1.0
	s_waitcnt lgkmcnt(0)
	s_cmp_lg_u32 s6, 1
	s_cselect_b64 s[0:1], -1, 0
	s_cmp_eq_u32 s6, 1
	s_cselect_b64 s[4:5], -1, 0
	s_and_b64 vcc, exec, s[0:1]
	s_cbranch_vccnz .LBB0_23
; %bb.22:
	v_div_scale_f32 v16, s[2:3], v12, v12, 1.0
	v_rcp_f32_e32 v18, v16
	v_div_scale_f32 v19, vcc, 1.0, v12, 1.0
	v_fma_f32 v20, -v16, v18, 1.0
	v_fmac_f32_e32 v18, v20, v18
	v_mul_f32_e32 v20, v19, v18
	v_fma_f32 v21, -v16, v20, v19
	v_fmac_f32_e32 v20, v21, v18
	v_fma_f32 v16, -v16, v20, v19
	v_div_fmas_f32 v16, v16, v18, v20
	v_div_fixup_f32 v16, v16, v12, 1.0
.LBB0_23:
	s_mul_i32 s33, s33, s30
	v_add_u32_e32 v5, s33, v5
	v_mul_lo_u32 v5, v5, s31
	v_add3_u32 v5, s35, v7, v5
	v_cmp_eq_u32_e32 vcc, 0, v4
	v_mul_lo_u32 v4, s6, v5
	v_add_u32_e32 v4, s7, v4
	v_cvt_f32_f16_sdwa v21, v32 dst_sel:DWORD dst_unused:UNUSED_PAD src0_sel:WORD_1
	v_cvt_f32_f16_e32 v20, v32
	v_cvt_f32_f16_sdwa v23, v14 dst_sel:DWORD dst_unused:UNUSED_PAD src0_sel:WORD_1
	v_cvt_f32_f16_e32 v22, v14
	v_lshl_add_u32 v18, v4, 7, v9
	v_mov_b32_e32 v19, 0
	v_lshlrev_b64 v[18:19], 2, v[18:19]
	s_and_b64 s[2:3], vcc, s[0:1]
	v_mov_b32_e32 v5, s25
	v_add_co_u32_e32 v24, vcc, s24, v18
	v_addc_co_u32_e32 v25, vcc, v5, v19, vcc
	v_pk_mul_f32 v[18:19], v[16:17], v[20:21] op_sel_hi:[0,1]
	v_pk_mul_f32 v[20:21], v[16:17], v[22:23] op_sel_hi:[0,1]
	global_store_dwordx4 v[24:25], v[18:21], off
	s_and_saveexec_b64 s[0:1], s[2:3]
	s_cbranch_execz .LBB0_25
; %bb.24:
	v_ashrrev_i32_e32 v5, 31, v4
	v_lshlrev_b64 v[18:19], 3, v[4:5]
	v_mov_b32_e32 v5, s27
	v_add_co_u32_e32 v18, vcc, s26, v18
	v_addc_co_u32_e32 v19, vcc, v5, v19, vcc
	v_mov_b32_e32 v20, v0
	v_mov_b32_e32 v21, v12
	global_store_dwordx2 v[18:19], v[20:21], off
.LBB0_25:
	s_or_b64 exec, exec, s[0:1]
	v_cndmask_b32_e64 v0, 0, 1, s[4:5]
	v_cmp_ne_u32_e64 s[0:1], 1, v0
	s_andn2_b64 vcc, exec, s[4:5]
	v_mov_b32_e32 v0, 1.0
	s_cbranch_vccnz .LBB0_27
; %bb.26:
	v_div_scale_f32 v0, s[4:5], v13, v13, 1.0
	v_rcp_f32_e32 v5, v0
	v_div_scale_f32 v7, vcc, 1.0, v13, 1.0
	v_fma_f32 v12, -v0, v5, 1.0
	v_fmac_f32_e32 v5, v12, v5
	v_mul_f32_e32 v12, v7, v5
	v_fma_f32 v14, -v0, v12, v7
	v_fmac_f32_e32 v12, v14, v5
	v_fma_f32 v0, -v0, v12, v7
	v_div_fmas_f32 v0, v0, v5, v12
	v_div_fixup_f32 v0, v0, v13, 1.0
.LBB0_27:
	v_add_u32_e32 v4, s6, v4
	v_cvt_f32_f16_sdwa v21, v27 dst_sel:DWORD dst_unused:UNUSED_PAD src0_sel:WORD_1
	v_cvt_f32_f16_e32 v20, v27
	v_cvt_f32_f16_sdwa v23, v8 dst_sel:DWORD dst_unused:UNUSED_PAD src0_sel:WORD_1
	v_cvt_f32_f16_e32 v22, v8
	v_lshl_add_u32 v18, v4, 7, v9
	v_mov_b32_e32 v19, 0
	v_lshlrev_b64 v[18:19], 2, v[18:19]
	v_mov_b32_e32 v5, s25
	v_add_co_u32_e32 v24, vcc, s24, v18
	v_addc_co_u32_e32 v25, vcc, v5, v19, vcc
	v_pk_mul_f32 v[18:19], v[0:1], v[20:21] op_sel_hi:[0,1]
	v_pk_mul_f32 v[20:21], v[0:1], v[22:23] op_sel_hi:[0,1]
	global_store_dwordx4 v[24:25], v[18:21], off
	s_and_saveexec_b64 s[4:5], s[2:3]
	s_cbranch_execz .LBB0_29
; %bb.28:
	v_ashrrev_i32_e32 v5, 31, v4
	v_lshlrev_b64 v[18:19], 3, v[4:5]
	v_mov_b32_e32 v0, s27
	v_add_co_u32_e32 v18, vcc, s26, v18
	v_addc_co_u32_e32 v19, vcc, v0, v19, vcc
	v_mov_b32_e32 v12, v1
	global_store_dwordx2 v[18:19], v[12:13], off
.LBB0_29:
	s_or_b64 exec, exec, s[4:5]
	s_and_b64 vcc, exec, s[0:1]
	v_mov_b32_e32 v8, 1.0
	s_cbranch_vccnz .LBB0_31
; %bb.30:
	v_div_scale_f32 v0, s[4:5], v10, v10, 1.0
	v_rcp_f32_e32 v1, v0
	v_div_scale_f32 v5, vcc, 1.0, v10, 1.0
	v_fma_f32 v7, -v0, v1, 1.0
	v_fmac_f32_e32 v1, v7, v1
	v_mul_f32_e32 v7, v5, v1
	v_fma_f32 v8, -v0, v7, v5
	v_fmac_f32_e32 v7, v8, v1
	v_fma_f32 v0, -v0, v7, v5
	v_div_fmas_f32 v0, v0, v1, v7
	v_div_fixup_f32 v8, v0, v10, 1.0
.LBB0_31:
	v_add_u32_e32 v0, s6, v4
	v_cvt_f32_f16_sdwa v13, v26 dst_sel:DWORD dst_unused:UNUSED_PAD src0_sel:WORD_1
	v_cvt_f32_f16_e32 v12, v26
	v_cvt_f32_f16_sdwa v7, v6 dst_sel:DWORD dst_unused:UNUSED_PAD src0_sel:WORD_1
	v_cvt_f32_f16_e32 v6, v6
	v_lshl_add_u32 v4, v0, 7, v9
	v_mov_b32_e32 v5, 0
	v_lshlrev_b64 v[4:5], 2, v[4:5]
	v_mov_b32_e32 v1, s25
	v_add_co_u32_e32 v18, vcc, s24, v4
	v_addc_co_u32_e32 v19, vcc, v1, v5, vcc
	v_pk_mul_f32 v[4:5], v[8:9], v[12:13] op_sel_hi:[0,1]
	v_pk_mul_f32 v[6:7], v[8:9], v[6:7] op_sel_hi:[0,1]
	global_store_dwordx4 v[18:19], v[4:7], off
	s_and_saveexec_b64 s[4:5], s[2:3]
	s_cbranch_execz .LBB0_33
; %bb.32:
	v_ashrrev_i32_e32 v1, 31, v0
	v_lshlrev_b64 v[4:5], 3, v[0:1]
	v_mov_b32_e32 v1, s27
	v_add_co_u32_e32 v4, vcc, s26, v4
	v_addc_co_u32_e32 v5, vcc, v1, v5, vcc
	v_mov_b32_e32 v6, v2
	v_mov_b32_e32 v7, v10
	global_store_dwordx2 v[4:5], v[6:7], off
.LBB0_33:
	s_or_b64 exec, exec, s[4:5]
	s_and_b64 vcc, exec, s[0:1]
	v_mov_b32_e32 v2, 1.0
	s_cbranch_vccnz .LBB0_35
; %bb.34:
	v_div_scale_f32 v1, s[0:1], v11, v11, 1.0
	v_rcp_f32_e32 v2, v1
	v_div_scale_f32 v4, vcc, 1.0, v11, 1.0
	v_fma_f32 v5, -v1, v2, 1.0
	v_fmac_f32_e32 v2, v5, v2
	v_mul_f32_e32 v5, v4, v2
	v_fma_f32 v6, -v1, v5, v4
	v_fmac_f32_e32 v5, v6, v2
	v_fma_f32 v1, -v1, v5, v4
	v_div_fmas_f32 v1, v1, v2, v5
	v_div_fixup_f32 v2, v1, v11, 1.0
.LBB0_35:
	v_add_u32_e32 v0, s6, v0
	v_lshl_add_u32 v4, v0, 7, v9
	v_cvt_f32_f16_sdwa v7, v17 dst_sel:DWORD dst_unused:UNUSED_PAD src0_sel:WORD_1
	v_cvt_f32_f16_e32 v6, v17
	v_cvt_f32_f16_sdwa v9, v15 dst_sel:DWORD dst_unused:UNUSED_PAD src0_sel:WORD_1
	v_cvt_f32_f16_e32 v8, v15
	v_mov_b32_e32 v5, 0
	v_lshlrev_b64 v[4:5], 2, v[4:5]
	v_mov_b32_e32 v1, s25
	v_add_co_u32_e32 v12, vcc, s24, v4
	v_addc_co_u32_e32 v13, vcc, v1, v5, vcc
	v_pk_mul_f32 v[4:5], v[2:3], v[6:7] op_sel_hi:[0,1]
	v_pk_mul_f32 v[6:7], v[2:3], v[8:9] op_sel_hi:[0,1]
	global_store_dwordx4 v[12:13], v[4:7], off
	s_and_b64 exec, exec, s[2:3]
	s_cbranch_execz .LBB0_37
; %bb.36:
	v_ashrrev_i32_e32 v1, 31, v0
	v_lshlrev_b64 v[0:1], 3, v[0:1]
	v_mov_b32_e32 v2, s27
	v_add_co_u32_e32 v0, vcc, s26, v0
	v_addc_co_u32_e32 v1, vcc, v2, v1, vcc
	v_mov_b32_e32 v10, v3
	global_store_dwordx2 v[0:1], v[10:11], off
.LBB0_37:
	s_endpgm
	.section	.rodata,"a",@progbits
	.p2align	6, 0x0
	.amdhsa_kernel _ZL15flash_attn_tileILi192ELi128ELi2ELi16ELb0EEvPKcS1_S1_S1_S1_PKiPfP15HIP_vector_typeIfLj2EEffffjfiS5_IjLj3EEiiiiiiiiiiiliiliiiiil
		.amdhsa_group_segment_fixed_size 18944
		.amdhsa_private_segment_fixed_size 0
		.amdhsa_kernarg_size 464
		.amdhsa_user_sgpr_count 6
		.amdhsa_user_sgpr_private_segment_buffer 1
		.amdhsa_user_sgpr_dispatch_ptr 0
		.amdhsa_user_sgpr_queue_ptr 0
		.amdhsa_user_sgpr_kernarg_segment_ptr 1
		.amdhsa_user_sgpr_dispatch_id 0
		.amdhsa_user_sgpr_flat_scratch_init 0
		.amdhsa_user_sgpr_kernarg_preload_length 0
		.amdhsa_user_sgpr_kernarg_preload_offset 0
		.amdhsa_user_sgpr_private_segment_size 0
		.amdhsa_uses_dynamic_stack 0
		.amdhsa_system_sgpr_private_segment_wavefront_offset 0
		.amdhsa_system_sgpr_workgroup_id_x 1
		.amdhsa_system_sgpr_workgroup_id_y 1
		.amdhsa_system_sgpr_workgroup_id_z 1
		.amdhsa_system_sgpr_workgroup_info 0
		.amdhsa_system_vgpr_workitem_id 1
		.amdhsa_next_free_vgpr 117
		.amdhsa_next_free_sgpr 41
		.amdhsa_accum_offset 120
		.amdhsa_reserve_vcc 1
		.amdhsa_reserve_flat_scratch 0
		.amdhsa_float_round_mode_32 0
		.amdhsa_float_round_mode_16_64 0
		.amdhsa_float_denorm_mode_32 3
		.amdhsa_float_denorm_mode_16_64 3
		.amdhsa_dx10_clamp 1
		.amdhsa_ieee_mode 1
		.amdhsa_fp16_overflow 0
		.amdhsa_tg_split 0
		.amdhsa_exception_fp_ieee_invalid_op 0
		.amdhsa_exception_fp_denorm_src 0
		.amdhsa_exception_fp_ieee_div_zero 0
		.amdhsa_exception_fp_ieee_overflow 0
		.amdhsa_exception_fp_ieee_underflow 0
		.amdhsa_exception_fp_ieee_inexact 0
		.amdhsa_exception_int_div_zero 0
	.end_amdhsa_kernel
	.section	.text._ZL15flash_attn_tileILi192ELi128ELi2ELi16ELb0EEvPKcS1_S1_S1_S1_PKiPfP15HIP_vector_typeIfLj2EEffffjfiS5_IjLj3EEiiiiiiiiiiiliiliiiiil,"axG",@progbits,_ZL15flash_attn_tileILi192ELi128ELi2ELi16ELb0EEvPKcS1_S1_S1_S1_PKiPfP15HIP_vector_typeIfLj2EEffffjfiS5_IjLj3EEiiiiiiiiiiiliiliiiiil,comdat
.Lfunc_end0:
	.size	_ZL15flash_attn_tileILi192ELi128ELi2ELi16ELb0EEvPKcS1_S1_S1_S1_PKiPfP15HIP_vector_typeIfLj2EEffffjfiS5_IjLj3EEiiiiiiiiiiiliiliiiiil, .Lfunc_end0-_ZL15flash_attn_tileILi192ELi128ELi2ELi16ELb0EEvPKcS1_S1_S1_S1_PKiPfP15HIP_vector_typeIfLj2EEffffjfiS5_IjLj3EEiiiiiiiiiiiliiliiiiil
                                        ; -- End function
	.section	.AMDGPU.csdata,"",@progbits
; Kernel info:
; codeLenInByte = 12944
; NumSgprs: 45
; NumVgprs: 117
; NumAgprs: 0
; TotalNumVgprs: 117
; ScratchSize: 0
; MemoryBound: 0
; FloatMode: 240
; IeeeMode: 1
; LDSByteSize: 18944 bytes/workgroup (compile time only)
; SGPRBlocks: 5
; VGPRBlocks: 14
; NumSGPRsForWavesPerEU: 45
; NumVGPRsForWavesPerEU: 117
; AccumOffset: 120
; Occupancy: 3
; WaveLimiterHint : 1
; COMPUTE_PGM_RSRC2:SCRATCH_EN: 0
; COMPUTE_PGM_RSRC2:USER_SGPR: 6
; COMPUTE_PGM_RSRC2:TRAP_HANDLER: 0
; COMPUTE_PGM_RSRC2:TGID_X_EN: 1
; COMPUTE_PGM_RSRC2:TGID_Y_EN: 1
; COMPUTE_PGM_RSRC2:TGID_Z_EN: 1
; COMPUTE_PGM_RSRC2:TIDIG_COMP_CNT: 1
; COMPUTE_PGM_RSRC3_GFX90A:ACCUM_OFFSET: 29
; COMPUTE_PGM_RSRC3_GFX90A:TG_SPLIT: 0
	.section	.text._ZL25flash_attn_mask_to_KV_maxILi2EEvPK7__half2Piiii,"axG",@progbits,_ZL25flash_attn_mask_to_KV_maxILi2EEvPK7__half2Piiii,comdat
	.globl	_ZL25flash_attn_mask_to_KV_maxILi2EEvPK7__half2Piiii ; -- Begin function _ZL25flash_attn_mask_to_KV_maxILi2EEvPK7__half2Piiii
	.p2align	8
	.type	_ZL25flash_attn_mask_to_KV_maxILi2EEvPK7__half2Piiii,@function
_ZL25flash_attn_mask_to_KV_maxILi2EEvPK7__half2Piiii: ; @_ZL25flash_attn_mask_to_KV_maxILi2EEvPK7__half2Piiii
; %bb.0:
	s_load_dwordx4 s[8:11], s[4:5], 0x0
	v_cmp_gt_u32_e32 vcc, 32, v0
	s_and_saveexec_b64 s[0:1], vcc
	s_cbranch_execz .LBB1_2
; %bb.1:
	v_lshlrev_b32_e32 v1, 2, v0
	v_mov_b32_e32 v2, 1
	ds_write_b32 v1, v2
.LBB1_2:
	s_or_b64 exec, exec, s[0:1]
	s_load_dwordx4 s[12:15], s[4:5], 0x10
	s_load_dword s16, s[4:5], 0x20
	v_and_b32_e32 v2, 31, v0
	v_lshlrev_b32_e32 v4, 2, v2
	v_lshrrev_b32_e32 v1, 3, v0
	s_waitcnt lgkmcnt(0)
	s_mul_i32 s1, s6, s13
	s_mul_i32 s0, s7, s14
	s_lshl_b32 s1, s1, 1
	s_add_i32 s0, s0, s1
	s_ashr_i32 s1, s0, 31
	s_lshl_b64 s[0:1], s[0:1], 2
	s_add_u32 s17, s8, s0
	s_addc_u32 s18, s9, s1
	v_cmp_eq_u32_e64 s[0:1], 0, v2
	v_mbcnt_lo_u32_b32 v2, -1, 0
	v_mbcnt_hi_u32_b32 v5, -1, v2
	v_and_b32_e32 v2, 0x60, v5
	s_lshl_b32 s12, s12, 8
	s_mov_b64 s[4:5], 0
	v_mov_b32_e32 v3, 0
	s_movk_i32 s19, 0x204
	s_movk_i32 s20, 0x7fff
	;; [unrolled: 1-line block ×3, first 2 shown]
	v_add_u32_e32 v6, 32, v2
	v_xor_b32_e32 v7, 16, v5
	v_xor_b32_e32 v8, 8, v5
	v_xor_b32_e32 v9, 4, v5
	v_xor_b32_e32 v10, 2, v5
	v_xor_b32_e32 v11, 1, v5
	s_barrier
	s_waitcnt lgkmcnt(0)
                                        ; implicit-def: $sgpr2_sgpr3
	s_branch .LBB1_5
.LBB1_3:                                ;   in Loop: Header=BB1_5 Depth=1
	s_or_b64 exec, exec, s[8:9]
	s_waitcnt lgkmcnt(0)
	s_barrier
	ds_read_b32 v16, v4
	s_waitcnt lgkmcnt(0)
	s_barrier
	ds_bpermute_b32 v2, v2, v16
	v_cmp_ne_u32_e32 vcc, 0, v16
	s_waitcnt lgkmcnt(0)
	v_cmp_ne_u32_e64 s[2:3], 0, v2
	s_and_b64 s[2:3], vcc, s[2:3]
	v_cndmask_b32_e64 v2, 0, 1, s[2:3]
	ds_bpermute_b32 v2, v12, v2
	s_waitcnt lgkmcnt(0)
	v_cmp_ne_u32_e32 vcc, 0, v2
	s_and_b64 s[2:3], vcc, s[2:3]
	v_cndmask_b32_e64 v2, 0, 1, s[2:3]
	ds_bpermute_b32 v2, v13, v2
	s_waitcnt lgkmcnt(0)
	v_cmp_ne_u32_e32 vcc, 0, v2
	;; [unrolled: 5-line block ×3, first 2 shown]
	s_and_b64 s[2:3], vcc, s[2:3]
	v_cndmask_b32_e64 v2, 0, 1, s[2:3]
	ds_bpermute_b32 v2, v15, v2
	s_xor_b64 s[2:3], s[2:3], -1
	s_waitcnt lgkmcnt(0)
	v_cmp_eq_u32_e32 vcc, 0, v2
	s_or_b64 s[2:3], vcc, s[2:3]
.LBB1_4:                                ;   in Loop: Header=BB1_5 Depth=1
	s_and_b64 s[8:9], exec, s[2:3]
	s_or_b64 s[4:5], s[8:9], s[4:5]
	v_mov_b32_e32 v2, s12
	s_mov_b32 s12, s22
	s_andn2_b64 exec, exec, s[4:5]
	s_cbranch_execz .LBB1_12
.LBB1_5:                                ; =>This Inner Loop Header: Depth=1
	s_add_i32 s22, s12, 0xffffff00
	s_or_b64 s[2:3], s[2:3], exec
	s_cmp_lt_i32 s22, 0
	s_cbranch_scc1 .LBB1_4
; %bb.6:                                ;   in Loop: Header=BB1_5 Depth=1
	s_lshr_b32 s2, s22, 1
	v_add_u32_e32 v2, s2, v0
	v_lshlrev_b64 v[12:13], 2, v[2:3]
	v_mov_b32_e32 v14, s18
	v_add_co_u32_e32 v12, vcc, s17, v12
	v_addc_co_u32_e32 v13, vcc, v14, v13, vcc
	global_load_dword v12, v[12:13], off
	s_mov_b64 s[8:9], 0
	s_waitcnt vmcnt(0)
	v_cmp_class_f16_e64 s[2:3], v12, s19
	v_and_b32_sdwa v12, s20, v12 dst_sel:DWORD dst_unused:UNUSED_PAD src0_sel:DWORD src1_sel:WORD_1
	v_cmp_eq_f16_e32 vcc, s21, v12
	s_and_b64 s[14:15], s[2:3], vcc
	s_and_saveexec_b64 s[2:3], s[14:15]
	s_cbranch_execz .LBB1_10
; %bb.7:                                ;   in Loop: Header=BB1_5 Depth=1
	v_add_u32_e32 v12, s13, v2
	v_ashrrev_i32_e32 v13, 31, v12
	v_lshlrev_b64 v[12:13], 2, v[12:13]
	v_mov_b32_e32 v2, s18
	v_add_co_u32_e32 v12, vcc, s17, v12
	v_addc_co_u32_e32 v13, vcc, v2, v13, vcc
	global_load_dword v2, v[12:13], off
	s_waitcnt vmcnt(0)
	v_cmp_class_f16_e64 s[24:25], v2, s19
	s_and_saveexec_b64 s[14:15], s[24:25]
; %bb.8:                                ;   in Loop: Header=BB1_5 Depth=1
	v_cmp_class_f16_sdwa s[8:9], v2, s19 src0_sel:WORD_1 src1_sel:DWORD
	s_and_b64 s[8:9], s[8:9], exec
; %bb.9:                                ;   in Loop: Header=BB1_5 Depth=1
	s_or_b64 exec, exec, s[14:15]
	s_and_b64 s[8:9], s[8:9], exec
.LBB1_10:                               ;   in Loop: Header=BB1_5 Depth=1
	s_or_b64 exec, exec, s[2:3]
	v_cmp_lt_i32_e32 vcc, v7, v6
	v_cndmask_b32_e32 v2, v5, v7, vcc
	v_cndmask_b32_e64 v12, 0, 1, s[8:9]
	v_lshlrev_b32_e32 v2, 2, v2
	ds_bpermute_b32 v12, v2, v12
	s_waitcnt lgkmcnt(0)
	v_cmp_ne_u32_e32 vcc, 0, v12
	s_and_b64 s[2:3], s[8:9], vcc
	v_cmp_lt_i32_e32 vcc, v8, v6
	v_cndmask_b32_e32 v12, v5, v8, vcc
	v_cndmask_b32_e64 v13, 0, 1, s[2:3]
	v_lshlrev_b32_e32 v12, 2, v12
	ds_bpermute_b32 v13, v12, v13
	s_waitcnt lgkmcnt(0)
	v_cmp_ne_u32_e32 vcc, 0, v13
	s_and_b64 s[2:3], vcc, s[2:3]
	v_cmp_lt_i32_e32 vcc, v9, v6
	v_cndmask_b32_e32 v13, v5, v9, vcc
	v_cndmask_b32_e64 v14, 0, 1, s[2:3]
	v_lshlrev_b32_e32 v13, 2, v13
	ds_bpermute_b32 v14, v13, v14
	s_waitcnt lgkmcnt(0)
	v_cmp_ne_u32_e32 vcc, 0, v14
	s_and_b64 s[2:3], vcc, s[2:3]
	;; [unrolled: 8-line block ×3, first 2 shown]
	v_cmp_lt_i32_e32 vcc, v11, v6
	v_cndmask_b32_e32 v15, v5, v11, vcc
	v_cndmask_b32_e64 v16, 0, 1, s[2:3]
	v_lshlrev_b32_e32 v15, 2, v15
	ds_bpermute_b32 v16, v15, v16
	s_and_saveexec_b64 s[8:9], s[0:1]
	s_cbranch_execz .LBB1_3
; %bb.11:                               ;   in Loop: Header=BB1_5 Depth=1
	s_waitcnt lgkmcnt(0)
	v_cmp_ne_u32_e32 vcc, 0, v16
	s_and_b64 s[2:3], vcc, s[2:3]
	v_cndmask_b32_e64 v16, 0, 1, s[2:3]
	ds_write_b32 v1, v16
	s_branch .LBB1_3
.LBB1_12:
	s_or_b64 exec, exec, s[4:5]
	v_cmp_eq_u32_e32 vcc, 0, v0
	s_and_saveexec_b64 s[0:1], vcc
	s_cbranch_execz .LBB1_14
; %bb.13:
	s_mul_i32 s0, s16, s7
	s_add_i32 s0, s0, s6
	s_ashr_i32 s1, s0, 31
	s_lshl_b64 s[0:1], s[0:1], 2
	s_add_u32 s0, s10, s0
	s_addc_u32 s1, s11, s1
	v_mov_b32_e32 v0, 0
	global_store_dword v0, v2, s[0:1]
.LBB1_14:
	s_endpgm
	.section	.rodata,"a",@progbits
	.p2align	6, 0x0
	.amdhsa_kernel _ZL25flash_attn_mask_to_KV_maxILi2EEvPK7__half2Piiii
		.amdhsa_group_segment_fixed_size 128
		.amdhsa_private_segment_fixed_size 0
		.amdhsa_kernarg_size 288
		.amdhsa_user_sgpr_count 6
		.amdhsa_user_sgpr_private_segment_buffer 1
		.amdhsa_user_sgpr_dispatch_ptr 0
		.amdhsa_user_sgpr_queue_ptr 0
		.amdhsa_user_sgpr_kernarg_segment_ptr 1
		.amdhsa_user_sgpr_dispatch_id 0
		.amdhsa_user_sgpr_flat_scratch_init 0
		.amdhsa_user_sgpr_kernarg_preload_length 0
		.amdhsa_user_sgpr_kernarg_preload_offset 0
		.amdhsa_user_sgpr_private_segment_size 0
		.amdhsa_uses_dynamic_stack 0
		.amdhsa_system_sgpr_private_segment_wavefront_offset 0
		.amdhsa_system_sgpr_workgroup_id_x 1
		.amdhsa_system_sgpr_workgroup_id_y 1
		.amdhsa_system_sgpr_workgroup_id_z 0
		.amdhsa_system_sgpr_workgroup_info 0
		.amdhsa_system_vgpr_workitem_id 0
		.amdhsa_next_free_vgpr 17
		.amdhsa_next_free_sgpr 26
		.amdhsa_accum_offset 20
		.amdhsa_reserve_vcc 1
		.amdhsa_reserve_flat_scratch 0
		.amdhsa_float_round_mode_32 0
		.amdhsa_float_round_mode_16_64 0
		.amdhsa_float_denorm_mode_32 3
		.amdhsa_float_denorm_mode_16_64 3
		.amdhsa_dx10_clamp 1
		.amdhsa_ieee_mode 1
		.amdhsa_fp16_overflow 0
		.amdhsa_tg_split 0
		.amdhsa_exception_fp_ieee_invalid_op 0
		.amdhsa_exception_fp_denorm_src 0
		.amdhsa_exception_fp_ieee_div_zero 0
		.amdhsa_exception_fp_ieee_overflow 0
		.amdhsa_exception_fp_ieee_underflow 0
		.amdhsa_exception_fp_ieee_inexact 0
		.amdhsa_exception_int_div_zero 0
	.end_amdhsa_kernel
	.section	.text._ZL25flash_attn_mask_to_KV_maxILi2EEvPK7__half2Piiii,"axG",@progbits,_ZL25flash_attn_mask_to_KV_maxILi2EEvPK7__half2Piiii,comdat
.Lfunc_end1:
	.size	_ZL25flash_attn_mask_to_KV_maxILi2EEvPK7__half2Piiii, .Lfunc_end1-_ZL25flash_attn_mask_to_KV_maxILi2EEvPK7__half2Piiii
                                        ; -- End function
	.section	.AMDGPU.csdata,"",@progbits
; Kernel info:
; codeLenInByte = 848
; NumSgprs: 30
; NumVgprs: 17
; NumAgprs: 0
; TotalNumVgprs: 17
; ScratchSize: 0
; MemoryBound: 0
; FloatMode: 240
; IeeeMode: 1
; LDSByteSize: 128 bytes/workgroup (compile time only)
; SGPRBlocks: 3
; VGPRBlocks: 2
; NumSGPRsForWavesPerEU: 30
; NumVGPRsForWavesPerEU: 17
; AccumOffset: 20
; Occupancy: 8
; WaveLimiterHint : 0
; COMPUTE_PGM_RSRC2:SCRATCH_EN: 0
; COMPUTE_PGM_RSRC2:USER_SGPR: 6
; COMPUTE_PGM_RSRC2:TRAP_HANDLER: 0
; COMPUTE_PGM_RSRC2:TGID_X_EN: 1
; COMPUTE_PGM_RSRC2:TGID_Y_EN: 1
; COMPUTE_PGM_RSRC2:TGID_Z_EN: 0
; COMPUTE_PGM_RSRC2:TIDIG_COMP_CNT: 0
; COMPUTE_PGM_RSRC3_GFX90A:ACCUM_OFFSET: 4
; COMPUTE_PGM_RSRC3_GFX90A:TG_SPLIT: 0
	.section	.text._ZL33flash_attn_stream_k_fixup_uniformILi128ELi2ELi16EEvPfPK15HIP_vector_typeIfLj2EEiiiiiiS1_IjLj3EES5_S5_,"axG",@progbits,_ZL33flash_attn_stream_k_fixup_uniformILi128ELi2ELi16EEvPfPK15HIP_vector_typeIfLj2EEiiiiiiS1_IjLj3EES5_S5_,comdat
	.globl	_ZL33flash_attn_stream_k_fixup_uniformILi128ELi2ELi16EEvPfPK15HIP_vector_typeIfLj2EEiiiiiiS1_IjLj3EES5_S5_ ; -- Begin function _ZL33flash_attn_stream_k_fixup_uniformILi128ELi2ELi16EEvPfPK15HIP_vector_typeIfLj2EEiiiiiiS1_IjLj3EES5_S5_
	.p2align	8
	.type	_ZL33flash_attn_stream_k_fixup_uniformILi128ELi2ELi16EEvPfPK15HIP_vector_typeIfLj2EEiiiiiiS1_IjLj3EES5_S5_,@function
_ZL33flash_attn_stream_k_fixup_uniformILi128ELi2ELi16EEvPfPK15HIP_vector_typeIfLj2EEiiiiiiS1_IjLj3EES5_S5_: ; @_ZL33flash_attn_stream_k_fixup_uniformILi128ELi2ELi16EEvPfPK15HIP_vector_typeIfLj2EEiiiiiiS1_IjLj3EES5_S5_
; %bb.0:
	s_load_dwordx8 s[12:19], s[4:5], 0x1c
	s_load_dwordx2 s[10:11], s[4:5], 0x10
	s_load_dwordx4 s[0:3], s[4:5], 0x3c
	s_waitcnt lgkmcnt(0)
	s_mul_hi_u32 s9, s15, s6
	s_add_i32 s9, s6, s9
	s_lshr_b32 s9, s9, s16
	s_mul_i32 s15, s9, s17
	s_sub_i32 s15, s6, s15
	s_mul_hi_u32 s16, s15, s18
	s_add_i32 s16, s15, s16
	s_lshr_b32 s16, s16, s19
	s_mul_i32 s0, s16, s0
	s_sub_i32 s0, s15, s0
	;; [unrolled: 5-line block ×3, first 2 shown]
	s_lshl_b32 s0, s17, 1
	s_lshl_b32 s15, s1, 4
	s_add_i32 s0, s0, s7
	s_cmp_lt_i32 s0, s10
	s_cselect_b64 s[0:1], -1, 0
	s_add_i32 s2, s15, s8
	s_cmp_lt_i32 s2, s13
	s_cselect_b64 s[2:3], -1, 0
	s_and_b64 s[0:1], s[0:1], s[2:3]
	s_andn2_b64 vcc, exec, s[0:1]
	s_cbranch_vccnz .LBB2_6
; %bb.1:
	s_load_dwordx4 s[0:3], s[4:5], 0x0
	s_mul_i32 s4, s9, s10
	s_add_i32 s4, s4, s7
	s_mul_i32 s4, s4, s11
	s_mul_i32 s16, s16, s13
	s_add_i32 s4, s4, s8
	s_add_i32 s4, s4, s16
	s_mul_i32 s5, s11, s17
	s_add_i32 s4, s4, s15
	s_lshl_b32 s5, s5, 8
	s_lshl_b32 s4, s4, 7
	s_add_i32 s5, s5, s4
	v_or_b32_e32 v2, s5, v0
	v_ashrrev_i32_e32 v3, 31, v2
	v_lshlrev_b64 v[2:3], 2, v[2:3]
	s_waitcnt lgkmcnt(0)
	v_mov_b32_e32 v1, s1
	v_add_co_u32_e32 v2, vcc, s0, v2
	v_addc_co_u32_e32 v3, vcc, v1, v3, vcc
	global_load_dword v8, v[2:3], off
	s_mul_i32 s9, s6, s14
	s_lshl_b32 s4, s7, 4
	s_add_i32 s11, s9, s14
	s_add_i32 s0, s4, s8
	s_lshl_b32 s1, s11, 5
	s_add_i32 s0, s0, s1
	s_sub_i32 s0, s0, 32
	s_ashr_i32 s1, s0, 31
	s_lshl_b64 s[0:1], s[0:1], 3
	s_add_u32 s0, s2, s0
	s_addc_u32 s1, s3, s1
	s_load_dword s5, s[0:1], 0x4
	s_add_i32 s10, s11, -2
	s_cmp_lt_i32 s10, s9
	s_cbranch_scc1 .LBB2_4
; %bb.2:
	s_lshl_b32 s16, s12, 7
	s_ashr_i32 s17, s16, 31
	s_lshl_b64 s[16:17], s[16:17], 2
	s_add_u32 s10, s2, s16
	s_addc_u32 s13, s3, s17
	s_add_i32 s6, s6, 1
	s_load_dword s0, s[0:1], 0x0
	s_mul_i32 s1, s14, s6
	s_lshl_b32 s7, s7, 11
	s_lshl_b32 s14, s8, 7
	s_lshl_b32 s6, s1, 12
	s_add_i32 s7, s14, s7
	s_lshl_b32 s1, s1, 5
	s_add_i32 s7, s7, s6
	s_add_i32 s1, s8, s1
	s_lshl_b32 s6, s12, 5
	s_add_i32 s1, s1, s6
	v_or_b32_e32 v0, s7, v0
	s_add_i32 s1, s1, s4
	s_add_i32 s11, s11, -1
	v_add_u32_e32 v0, 0xffffe000, v0
	s_sub_i32 s4, s1, 64
	s_waitcnt lgkmcnt(0)
	v_mov_b32_e32 v7, s5
	v_mov_b32_e32 v6, s0
	;; [unrolled: 1-line block ×3, first 2 shown]
	s_mov_b32 s6, 0x3fb8aa3b
	s_mov_b32 s7, 0xc2ce8ed0
	;; [unrolled: 1-line block ×3, first 2 shown]
	v_mov_b32_e32 v5, 0x7f800000
	s_mov_b32 s12, 0xc1a00000
.LBB2_3:                                ; =>This Inner Loop Header: Depth=1
	v_ashrrev_i32_e32 v1, 31, v0
	v_lshlrev_b64 v[10:11], 2, v[0:1]
	v_add_co_u32_e32 v10, vcc, s10, v10
	v_addc_co_u32_e32 v11, vcc, v4, v11, vcc
	global_load_dword v1, v[10:11], off
	s_ashr_i32 s5, s4, 31
	s_lshl_b64 s[0:1], s[4:5], 3
	s_add_u32 s0, s2, s0
	s_addc_u32 s1, s3, s1
	s_load_dwordx2 s[14:15], s[0:1], 0x0
	s_waitcnt vmcnt(1)
	v_mov_b32_e32 v9, v8
	v_max_f32_e32 v8, v6, v6
	v_mov_b32_e32 v10, v7
	s_add_i32 s11, s11, -1
	s_waitcnt lgkmcnt(0)
	v_max_f32_e64 v7, s14, s14
	v_max_f32_e32 v7, v8, v7
	v_sub_f32_e32 v11, s14, v7
	v_sub_f32_e32 v8, v6, v7
	v_mul_f32_e32 v12, 0x3fb8aa3b, v11
	v_mov_b32_e32 v6, v7
	v_mul_f32_e32 v7, 0x3fb8aa3b, v8
	v_fma_f32 v15, v11, s6, -v12
	v_rndne_f32_e32 v16, v12
	v_fma_f32 v13, v8, s6, -v7
	v_rndne_f32_e32 v14, v7
	v_fmac_f32_e32 v15, 0x32a5705f, v11
	v_sub_f32_e32 v12, v12, v16
	v_fmac_f32_e32 v13, 0x32a5705f, v8
	v_sub_f32_e32 v7, v7, v14
	v_add_f32_e32 v12, v12, v15
	v_cvt_i32_f32_e32 v16, v16
	v_add_f32_e32 v7, v7, v13
	v_exp_f32_e32 v12, v12
	v_cvt_i32_f32_e32 v14, v14
	v_exp_f32_e32 v7, v7
	v_cmp_ngt_f32_e32 vcc, s7, v11
	v_ldexp_f32 v12, v12, v16
	v_cmp_ngt_f32_e64 s[0:1], s7, v8
	v_ldexp_f32 v7, v7, v14
	v_cndmask_b32_e32 v12, 0, v12, vcc
	v_cmp_nlt_f32_e32 vcc, s8, v11
	v_cndmask_b32_e64 v7, 0, v7, s[0:1]
	v_cmp_nlt_f32_e64 s[0:1], s8, v8
	v_cndmask_b32_e32 v12, v5, v12, vcc
	v_cmp_le_f32_e32 vcc, s12, v11
	v_cndmask_b32_e64 v7, v5, v7, s[0:1]
	v_cmp_le_f32_e64 s[0:1], s12, v8
	v_cndmask_b32_e32 v8, 0, v12, vcc
	s_sub_i32 s4, s4, 32
	v_cndmask_b32_e64 v11, 0, v7, s[0:1]
	v_mul_f32_e32 v7, s15, v8
	v_add_u32_e32 v0, 0xfffff000, v0
	s_cmp_le_i32 s11, s9
	v_fmac_f32_e32 v7, v10, v11
	s_waitcnt vmcnt(0)
	v_mul_f32_e32 v8, v1, v8
	v_fmac_f32_e32 v8, v9, v11
	s_cbranch_scc0 .LBB2_3
	s_branch .LBB2_5
.LBB2_4:
	s_waitcnt lgkmcnt(0)
	v_mov_b32_e32 v7, s5
.LBB2_5:
	s_waitcnt vmcnt(0)
	v_div_scale_f32 v0, s[0:1], v7, v7, v8
	v_rcp_f32_e32 v1, v0
	v_div_scale_f32 v4, vcc, v8, v7, v8
	v_fma_f32 v5, -v0, v1, 1.0
	v_fmac_f32_e32 v1, v5, v1
	v_mul_f32_e32 v5, v4, v1
	v_fma_f32 v6, -v0, v5, v4
	v_fmac_f32_e32 v5, v6, v1
	v_fma_f32 v0, -v0, v5, v4
	v_div_fmas_f32 v0, v0, v1, v5
	v_div_fixup_f32 v0, v0, v7, v8
	global_store_dword v[2:3], v0, off
.LBB2_6:
	s_endpgm
	.section	.rodata,"a",@progbits
	.p2align	6, 0x0
	.amdhsa_kernel _ZL33flash_attn_stream_k_fixup_uniformILi128ELi2ELi16EEvPfPK15HIP_vector_typeIfLj2EEiiiiiiS1_IjLj3EES5_S5_
		.amdhsa_group_segment_fixed_size 0
		.amdhsa_private_segment_fixed_size 0
		.amdhsa_kernarg_size 76
		.amdhsa_user_sgpr_count 6
		.amdhsa_user_sgpr_private_segment_buffer 1
		.amdhsa_user_sgpr_dispatch_ptr 0
		.amdhsa_user_sgpr_queue_ptr 0
		.amdhsa_user_sgpr_kernarg_segment_ptr 1
		.amdhsa_user_sgpr_dispatch_id 0
		.amdhsa_user_sgpr_flat_scratch_init 0
		.amdhsa_user_sgpr_kernarg_preload_length 0
		.amdhsa_user_sgpr_kernarg_preload_offset 0
		.amdhsa_user_sgpr_private_segment_size 0
		.amdhsa_uses_dynamic_stack 0
		.amdhsa_system_sgpr_private_segment_wavefront_offset 0
		.amdhsa_system_sgpr_workgroup_id_x 1
		.amdhsa_system_sgpr_workgroup_id_y 1
		.amdhsa_system_sgpr_workgroup_id_z 1
		.amdhsa_system_sgpr_workgroup_info 0
		.amdhsa_system_vgpr_workitem_id 0
		.amdhsa_next_free_vgpr 17
		.amdhsa_next_free_sgpr 20
		.amdhsa_accum_offset 20
		.amdhsa_reserve_vcc 1
		.amdhsa_reserve_flat_scratch 0
		.amdhsa_float_round_mode_32 0
		.amdhsa_float_round_mode_16_64 0
		.amdhsa_float_denorm_mode_32 3
		.amdhsa_float_denorm_mode_16_64 3
		.amdhsa_dx10_clamp 1
		.amdhsa_ieee_mode 1
		.amdhsa_fp16_overflow 0
		.amdhsa_tg_split 0
		.amdhsa_exception_fp_ieee_invalid_op 0
		.amdhsa_exception_fp_denorm_src 0
		.amdhsa_exception_fp_ieee_div_zero 0
		.amdhsa_exception_fp_ieee_overflow 0
		.amdhsa_exception_fp_ieee_underflow 0
		.amdhsa_exception_fp_ieee_inexact 0
		.amdhsa_exception_int_div_zero 0
	.end_amdhsa_kernel
	.section	.text._ZL33flash_attn_stream_k_fixup_uniformILi128ELi2ELi16EEvPfPK15HIP_vector_typeIfLj2EEiiiiiiS1_IjLj3EES5_S5_,"axG",@progbits,_ZL33flash_attn_stream_k_fixup_uniformILi128ELi2ELi16EEvPfPK15HIP_vector_typeIfLj2EEiiiiiiS1_IjLj3EES5_S5_,comdat
.Lfunc_end2:
	.size	_ZL33flash_attn_stream_k_fixup_uniformILi128ELi2ELi16EEvPfPK15HIP_vector_typeIfLj2EEiiiiiiS1_IjLj3EES5_S5_, .Lfunc_end2-_ZL33flash_attn_stream_k_fixup_uniformILi128ELi2ELi16EEvPfPK15HIP_vector_typeIfLj2EEiiiiiiS1_IjLj3EES5_S5_
                                        ; -- End function
	.section	.AMDGPU.csdata,"",@progbits
; Kernel info:
; codeLenInByte = 856
; NumSgprs: 24
; NumVgprs: 17
; NumAgprs: 0
; TotalNumVgprs: 17
; ScratchSize: 0
; MemoryBound: 0
; FloatMode: 240
; IeeeMode: 1
; LDSByteSize: 0 bytes/workgroup (compile time only)
; SGPRBlocks: 2
; VGPRBlocks: 2
; NumSGPRsForWavesPerEU: 24
; NumVGPRsForWavesPerEU: 17
; AccumOffset: 20
; Occupancy: 8
; WaveLimiterHint : 0
; COMPUTE_PGM_RSRC2:SCRATCH_EN: 0
; COMPUTE_PGM_RSRC2:USER_SGPR: 6
; COMPUTE_PGM_RSRC2:TRAP_HANDLER: 0
; COMPUTE_PGM_RSRC2:TGID_X_EN: 1
; COMPUTE_PGM_RSRC2:TGID_Y_EN: 1
; COMPUTE_PGM_RSRC2:TGID_Z_EN: 1
; COMPUTE_PGM_RSRC2:TIDIG_COMP_CNT: 0
; COMPUTE_PGM_RSRC3_GFX90A:ACCUM_OFFSET: 4
; COMPUTE_PGM_RSRC3_GFX90A:TG_SPLIT: 0
	.section	.text._ZL33flash_attn_stream_k_fixup_generalILi128ELi2ELi16EEvPfPK15HIP_vector_typeIfLj2EEiiiiS1_IjLj3EES5_S5_S5_,"axG",@progbits,_ZL33flash_attn_stream_k_fixup_generalILi128ELi2ELi16EEvPfPK15HIP_vector_typeIfLj2EEiiiiS1_IjLj3EES5_S5_S5_,comdat
	.globl	_ZL33flash_attn_stream_k_fixup_generalILi128ELi2ELi16EEvPfPK15HIP_vector_typeIfLj2EEiiiiS1_IjLj3EES5_S5_S5_ ; -- Begin function _ZL33flash_attn_stream_k_fixup_generalILi128ELi2ELi16EEvPfPK15HIP_vector_typeIfLj2EEiiiiS1_IjLj3EES5_S5_S5_
	.p2align	8
	.type	_ZL33flash_attn_stream_k_fixup_generalILi128ELi2ELi16EEvPfPK15HIP_vector_typeIfLj2EEiiiiS1_IjLj3EES5_S5_S5_,@function
_ZL33flash_attn_stream_k_fixup_generalILi128ELi2ELi16EEvPfPK15HIP_vector_typeIfLj2EEiiiiS1_IjLj3EES5_S5_S5_: ; @_ZL33flash_attn_stream_k_fixup_generalILi128ELi2ELi16EEvPfPK15HIP_vector_typeIfLj2EEiiiiS1_IjLj3EES5_S5_S5_
; %bb.0:
	s_load_dwordx4 s[12:15], s[4:5], 0x10
	s_load_dword s9, s[4:5], 0x50
	s_mov_b32 s2, 0
	s_waitcnt lgkmcnt(0)
	s_mul_hi_i32 s3, s15, s6
	s_cmp_lg_u64 s[2:3], 0
	s_mul_i32 s2, s15, s6
	s_cbranch_scc0 .LBB3_21
; %bb.1:
	v_cvt_f32_u32_e32 v1, s9
	v_cvt_f32_ubyte0_e32 v2, 0
	s_sub_u32 s10, 0, s9
	s_subb_u32 s11, 0, 0
	v_madmk_f32 v1, v2, 0x4f800000, v1
	v_rcp_f32_e32 v1, v1
	v_mul_f32_e32 v1, 0x5f7ffffc, v1
	v_mul_f32_e32 v2, 0x2f800000, v1
	v_trunc_f32_e32 v2, v2
	v_madmk_f32 v1, v2, 0xcf800000, v1
	v_cvt_u32_f32_e32 v2, v2
	v_cvt_u32_f32_e32 v1, v1
	v_readfirstlane_b32 s16, v2
	v_readfirstlane_b32 s17, v1
	s_mul_i32 s18, s10, s16
	s_mul_hi_u32 s20, s10, s17
	s_mul_i32 s19, s11, s17
	s_add_i32 s18, s20, s18
	s_add_i32 s18, s18, s19
	s_mul_i32 s21, s10, s17
	s_mul_hi_u32 s19, s17, s18
	s_mul_i32 s20, s17, s18
	s_mul_hi_u32 s17, s17, s21
	s_add_u32 s17, s17, s20
	s_addc_u32 s19, 0, s19
	s_mul_hi_u32 s22, s16, s21
	s_mul_i32 s21, s16, s21
	s_add_u32 s17, s17, s21
	s_mul_hi_u32 s20, s16, s18
	s_addc_u32 s17, s19, s22
	s_addc_u32 s19, s20, 0
	s_mul_i32 s18, s16, s18
	s_add_u32 s17, s17, s18
	s_addc_u32 s18, 0, s19
	v_add_co_u32_e32 v1, vcc, s17, v1
	s_cmp_lg_u64 vcc, 0
	s_addc_u32 s16, s16, s18
	v_readfirstlane_b32 s18, v1
	s_mul_i32 s17, s10, s16
	s_mul_hi_u32 s19, s10, s18
	s_add_i32 s17, s19, s17
	s_mul_i32 s11, s11, s18
	s_add_i32 s17, s17, s11
	s_mul_i32 s10, s10, s18
	s_mul_hi_u32 s19, s16, s10
	s_mul_i32 s20, s16, s10
	s_mul_i32 s22, s18, s17
	s_mul_hi_u32 s10, s18, s10
	s_mul_hi_u32 s21, s18, s17
	s_add_u32 s10, s10, s22
	s_addc_u32 s18, 0, s21
	s_add_u32 s10, s10, s20
	s_mul_hi_u32 s11, s16, s17
	s_addc_u32 s10, s18, s19
	s_addc_u32 s11, s11, 0
	s_mul_i32 s17, s16, s17
	s_add_u32 s10, s10, s17
	s_addc_u32 s11, 0, s11
	v_add_co_u32_e32 v1, vcc, s10, v1
	s_cmp_lg_u64 vcc, 0
	s_addc_u32 s18, s16, s11
	s_ashr_i32 s10, s3, 31
	s_add_u32 s16, s2, s10
	s_mov_b32 s11, s10
	s_addc_u32 s17, s3, s10
	s_xor_b64 s[16:17], s[16:17], s[10:11]
	v_readfirstlane_b32 s20, v1
	s_mul_i32 s19, s16, s18
	s_mul_hi_u32 s21, s16, s20
	s_mul_hi_u32 s3, s16, s18
	s_add_u32 s19, s21, s19
	s_addc_u32 s3, 0, s3
	s_mul_hi_u32 s22, s17, s20
	s_mul_i32 s20, s17, s20
	s_add_u32 s19, s19, s20
	s_mul_hi_u32 s21, s17, s18
	s_addc_u32 s3, s3, s22
	s_addc_u32 s19, s21, 0
	s_mul_i32 s18, s17, s18
	s_add_u32 s3, s3, s18
	s_addc_u32 s18, 0, s19
	s_add_u32 s19, s3, 1
	s_addc_u32 s20, s18, 0
	s_add_u32 s21, s3, 2
	s_mul_i32 s23, s9, s18
	s_mul_hi_u32 s24, s9, s3
	s_addc_u32 s22, s18, 0
	s_add_i32 s24, s24, s23
	s_mul_i32 s23, s9, s3
	v_mov_b32_e32 v1, s23
	v_sub_co_u32_e32 v1, vcc, s16, v1
	s_cmp_lg_u64 vcc, 0
	s_subb_u32 s16, s17, s24
	v_subrev_co_u32_e32 v2, vcc, s9, v1
	s_cmp_lg_u64 vcc, 0
	s_subb_u32 s17, s16, 0
	v_readfirstlane_b32 s23, v2
	s_cmp_ge_u32 s23, s9
	s_cselect_b32 s23, -1, 0
	s_cmp_eq_u32 s17, 0
	s_cselect_b32 s17, s23, -1
	s_cmp_lg_u32 s17, 0
	s_cselect_b32 s17, s22, s20
	v_readfirstlane_b32 s20, v1
	s_cselect_b32 s19, s21, s19
	s_cmp_ge_u32 s20, s9
	s_cselect_b32 s20, -1, 0
	s_cmp_eq_u32 s16, 0
	s_cselect_b32 s16, s20, -1
	s_cmp_lg_u32 s16, 0
	s_cselect_b32 s17, s17, s18
	s_cselect_b32 s16, s19, s3
	s_xor_b64 s[16:17], s[16:17], s[10:11]
	s_sub_u32 s20, s16, s10
	s_load_dwordx4 s[16:19], s[4:5], 0x44
	s_cbranch_execnz .LBB3_3
.LBB3_2:
	v_cvt_f32_u32_e32 v1, s9
	s_sub_i32 s0, 0, s9
	v_rcp_iflag_f32_e32 v1, v1
	v_mul_f32_e32 v1, 0x4f7ffffe, v1
	v_cvt_u32_f32_e32 v1, v1
	v_readfirstlane_b32 s1, v1
	s_mul_i32 s0, s0, s1
	s_mul_hi_u32 s0, s1, s0
	s_add_i32 s1, s1, s0
	s_mul_hi_u32 s0, s2, s1
	s_mul_i32 s3, s0, s9
	s_sub_i32 s2, s2, s3
	s_add_i32 s1, s0, 1
	s_sub_i32 s3, s2, s9
	s_cmp_ge_u32 s2, s9
	s_cselect_b32 s0, s1, s0
	s_cselect_b32 s2, s3, s2
	s_add_i32 s1, s0, 1
	s_cmp_ge_u32 s2, s9
	s_cselect_b32 s20, s1, s0
.LBB3_3:
	s_add_i32 s0, s6, 1
	s_mul_hi_i32 s3, s15, s0
	s_mov_b32 s2, 0
	s_cmp_lg_u64 s[2:3], 0
	s_mul_i32 s2, s15, s0
	s_cbranch_scc0 .LBB3_22
; %bb.4:
	v_cvt_f32_u32_e32 v1, s9
	v_cvt_f32_ubyte0_e32 v2, 0
	s_sub_u32 s10, 0, s9
	s_subb_u32 s11, 0, 0
	v_madmk_f32 v1, v2, 0x4f800000, v1
	v_rcp_f32_e32 v1, v1
	v_mul_f32_e32 v1, 0x5f7ffffc, v1
	v_mul_f32_e32 v2, 0x2f800000, v1
	v_trunc_f32_e32 v2, v2
	v_madmk_f32 v1, v2, 0xcf800000, v1
	v_cvt_u32_f32_e32 v2, v2
	v_cvt_u32_f32_e32 v1, v1
	s_waitcnt lgkmcnt(0)
	v_readfirstlane_b32 s19, v2
	v_readfirstlane_b32 s21, v1
	s_mul_i32 s22, s10, s19
	s_mul_hi_u32 s24, s10, s21
	s_mul_i32 s23, s11, s21
	s_add_i32 s22, s24, s22
	s_add_i32 s22, s22, s23
	s_mul_i32 s25, s10, s21
	s_mul_hi_u32 s23, s21, s22
	s_mul_i32 s24, s21, s22
	s_mul_hi_u32 s21, s21, s25
	s_add_u32 s21, s21, s24
	s_addc_u32 s23, 0, s23
	s_mul_hi_u32 s26, s19, s25
	s_mul_i32 s25, s19, s25
	s_add_u32 s21, s21, s25
	s_mul_hi_u32 s24, s19, s22
	s_addc_u32 s21, s23, s26
	s_addc_u32 s23, s24, 0
	s_mul_i32 s22, s19, s22
	s_add_u32 s21, s21, s22
	s_addc_u32 s22, 0, s23
	v_add_co_u32_e32 v1, vcc, s21, v1
	s_cmp_lg_u64 vcc, 0
	s_addc_u32 s19, s19, s22
	v_readfirstlane_b32 s22, v1
	s_mul_i32 s21, s10, s19
	s_mul_hi_u32 s23, s10, s22
	s_add_i32 s21, s23, s21
	s_mul_i32 s11, s11, s22
	s_add_i32 s21, s21, s11
	s_mul_i32 s10, s10, s22
	s_mul_hi_u32 s23, s19, s10
	s_mul_i32 s24, s19, s10
	s_mul_i32 s26, s22, s21
	s_mul_hi_u32 s10, s22, s10
	s_mul_hi_u32 s25, s22, s21
	s_add_u32 s10, s10, s26
	s_addc_u32 s22, 0, s25
	s_add_u32 s10, s10, s24
	s_mul_hi_u32 s11, s19, s21
	s_addc_u32 s10, s22, s23
	s_addc_u32 s11, s11, 0
	s_mul_i32 s21, s19, s21
	s_add_u32 s10, s10, s21
	s_addc_u32 s11, 0, s11
	v_add_co_u32_e32 v1, vcc, s10, v1
	s_cmp_lg_u64 vcc, 0
	s_addc_u32 s19, s19, s11
	s_ashr_i32 s10, s3, 31
	s_add_u32 s22, s2, s10
	s_mov_b32 s11, s10
	s_addc_u32 s23, s3, s10
	s_xor_b64 s[22:23], s[22:23], s[10:11]
	v_readfirstlane_b32 s21, v1
	s_mul_i32 s11, s22, s19
	s_mul_hi_u32 s24, s22, s21
	s_mul_hi_u32 s3, s22, s19
	s_add_u32 s11, s24, s11
	s_addc_u32 s3, 0, s3
	s_mul_hi_u32 s25, s23, s21
	s_mul_i32 s21, s23, s21
	s_add_u32 s11, s11, s21
	s_mul_hi_u32 s24, s23, s19
	s_addc_u32 s3, s3, s25
	s_addc_u32 s11, s24, 0
	s_mul_i32 s19, s23, s19
	s_add_u32 s3, s3, s19
	s_addc_u32 s11, 0, s11
	s_mul_i32 s11, s9, s11
	s_mul_hi_u32 s24, s9, s3
	s_add_i32 s24, s24, s11
	s_mul_i32 s11, s9, s3
	v_mov_b32_e32 v1, s11
	s_add_u32 s19, s3, 1
	s_add_u32 s21, s3, 2
	v_sub_co_u32_e32 v1, vcc, s22, v1
	s_cmp_lg_u64 vcc, 0
	s_subb_u32 s11, s23, s24
	v_subrev_co_u32_e32 v2, vcc, s9, v1
	s_cmp_lg_u64 vcc, 0
	s_subb_u32 s22, s11, 0
	v_cmp_le_u32_e32 vcc, s9, v2
	s_cmp_eq_u32 s22, 0
	v_cndmask_b32_e64 v2, 0, -1, vcc
	s_cselect_b64 vcc, -1, 0
	v_cndmask_b32_e32 v2, -1, v2, vcc
	v_mov_b32_e32 v3, s19
	v_mov_b32_e32 v4, s21
	v_cmp_ne_u32_e32 vcc, 0, v2
	v_cndmask_b32_e32 v2, v3, v4, vcc
	v_cmp_le_u32_e32 vcc, s9, v1
	s_cmp_eq_u32 s11, 0
	v_cndmask_b32_e64 v1, 0, -1, vcc
	s_cselect_b64 vcc, -1, 0
	v_cndmask_b32_e32 v1, -1, v1, vcc
	v_mov_b32_e32 v3, s3
	v_cmp_ne_u32_e32 vcc, 0, v1
	v_cndmask_b32_e32 v1, v3, v2, vcc
	v_xor_b32_e32 v1, s10, v1
	v_subrev_co_u32_e32 v2, vcc, s10, v1
	s_cbranch_execnz .LBB3_6
.LBB3_5:
	v_cvt_f32_u32_e32 v1, s9
	s_sub_i32 s0, 0, s9
	s_mov_b32 s1, 0
	v_rcp_iflag_f32_e32 v1, v1
	v_mul_f32_e32 v1, 0x4f7ffffe, v1
	v_cvt_u32_f32_e32 v1, v1
	v_readfirstlane_b32 s3, v1
	s_mul_i32 s0, s0, s3
	s_mul_hi_u32 s0, s3, s0
	s_add_i32 s3, s3, s0
	s_mul_hi_u32 s0, s2, s3
	s_mul_i32 s10, s0, s9
	s_sub_i32 s2, s2, s10
	s_add_i32 s3, s0, 1
	s_sub_i32 s10, s2, s9
	s_cmp_ge_u32 s2, s9
	s_cselect_b32 s0, s3, s0
	s_cselect_b32 s2, s10, s2
	s_add_i32 s3, s0, 1
	s_cmp_ge_u32 s2, s9
	s_cselect_b32 s0, s3, s0
	v_pk_mov_b32 v[2:3], s[0:1], s[0:1] op_sel:[0,1]
.LBB3_6:
	s_waitcnt lgkmcnt(0)
	s_mul_hi_u32 s0, s20, s16
	s_add_i32 s0, s0, s20
	v_mul_hi_u32 v1, v2, s16
	s_lshr_b32 s19, s0, s17
	v_add_u32_e32 v1, v1, v2
	s_mul_i32 s0, s19, s18
	v_lshrrev_b32_e32 v1, s17, v1
	s_cmp_eq_u32 s0, s20
	v_cmp_eq_u32_e64 s[0:1], s19, v1
	v_mul_lo_u32 v1, v1, s18
	v_cmp_eq_u32_e32 vcc, s20, v2
	s_cselect_b64 s[10:11], -1, 0
	v_cmp_ne_u32_e64 s[2:3], v1, v2
	s_and_b64 s[0:1], s[0:1], s[2:3]
	s_or_b64 s[2:3], vcc, s[10:11]
	s_or_b64 s[0:1], s[2:3], s[0:1]
	s_and_b64 vcc, exec, s[0:1]
	s_cbranch_vccnz .LBB3_24
; %bb.7:
	s_load_dwordx8 s[24:31], s[4:5], 0x20
	s_load_dword s0, s[4:5], 0x40
	s_mov_b32 s10, 0
	s_waitcnt lgkmcnt(0)
	s_mul_hi_u32 s1, s20, s24
	s_add_i32 s1, s1, s20
	s_lshr_b32 s11, s1, s25
	s_mul_i32 s1, s11, s26
	s_sub_i32 s1, s20, s1
	s_mul_hi_u32 s2, s1, s27
	s_add_i32 s2, s1, s2
	s_lshr_b32 s24, s2, s28
	s_mul_i32 s2, s24, s29
	s_sub_i32 s1, s1, s2
	;; [unrolled: 5-line block ×3, first 2 shown]
	s_mul_hi_u32 s1, s0, s16
	s_add_i32 s0, s0, s1
	s_lshr_b32 s26, s0, s17
	s_lshl_b32 s0, s26, 1
	s_lshl_b32 s25, s2, 4
	s_add_i32 s0, s0, s7
	s_cmp_lt_i32 s0, s12
	s_cselect_b64 s[0:1], -1, 0
	s_add_i32 s2, s25, s8
	s_cmp_lt_i32 s2, s14
	s_cselect_b64 s[2:3], -1, 0
	s_and_b64 s[0:1], s[0:1], s[2:3]
	s_andn2_b64 vcc, exec, s[0:1]
	s_cbranch_vccnz .LBB3_24
; %bb.8:
	s_load_dwordx4 s[0:3], s[4:5], 0x0
	s_lshl_b32 s21, s7, 4
	s_lshl_b32 s4, s9, 7
	s_mov_b32 s5, s10
	s_add_i32 s21, s21, s8
	s_lshl_b64 s[4:5], s[4:5], 2
	s_waitcnt lgkmcnt(0)
	s_add_u32 s22, s2, s4
	s_mul_i32 s4, s11, s12
	s_addc_u32 s23, s3, s5
	s_add_i32 s4, s4, s7
	s_mul_i32 s4, s4, s13
	s_mul_i32 s24, s24, s14
	s_add_i32 s4, s4, s8
	s_add_i32 s4, s4, s24
	s_mul_i32 s5, s13, s26
	s_add_i32 s4, s4, s25
	s_lshl_b32 s5, s5, 8
	s_lshl_b32 s4, s4, 7
	s_add_i32 s5, s5, s4
	v_or_b32_e32 v2, s5, v0
	v_ashrrev_i32_e32 v3, 31, v2
	v_lshlrev_b64 v[2:3], 2, v[2:3]
	v_mov_b32_e32 v1, s1
	v_add_co_u32_e32 v2, vcc, s0, v2
	v_addc_co_u32_e32 v3, vcc, v1, v3, vcc
	global_load_dword v5, v[2:3], off
	v_lshl_or_b32 v4, s21, 7, v0
	v_cvt_f32_u32_e32 v0, s9
	v_cvt_f32_ubyte0_e32 v1, 0
	s_lshl_b32 s0, s6, 5
	s_add_i32 s0, s21, s0
	v_mac_f32_e32 v0, 0x4f800000, v1
	v_rcp_f32_e32 v0, v0
	v_cvt_f32_u32_e32 v1, s9
	s_ashr_i32 s1, s0, 31
	s_lshl_b64 s[0:1], s[0:1], 3
	v_mul_f32_e32 v0, 0x5f7ffffc, v0
	v_rcp_iflag_f32_e32 v1, v1
	s_add_u32 s0, s2, s0
	v_mul_f32_e32 v9, 0x2f800000, v0
	s_addc_u32 s1, s3, s1
	v_trunc_f32_e32 v10, v9
	s_load_dwordx2 s[0:1], s[0:1], 0x0
	v_mac_f32_e32 v0, 0xcf800000, v10
	v_cvt_u32_f32_e32 v9, v0
	v_mul_f32_e32 v0, 0x4f7ffffe, v1
	v_cvt_u32_f32_e32 v10, v10
	v_cvt_u32_f32_e32 v11, v0
	s_add_i32 s8, s6, -1
	s_waitcnt lgkmcnt(0)
	v_mov_b32_e32 v6, s1
	v_mov_b32_e32 v7, s0
	;; [unrolled: 1-line block ×3, first 2 shown]
	s_mov_b32 s6, 0x3fb8aa3b
	s_mov_b32 s7, 0xc2ce8ed0
	;; [unrolled: 1-line block ×4, first 2 shown]
	v_mov_b32_e32 v12, 0x7f800000
	s_mul_hi_i32 s11, s8, s15
	s_cmp_lg_u64 s[10:11], 0
	s_mul_i32 s4, s8, s15
	s_cbranch_scc0 .LBB3_15
.LBB3_9:
	s_sub_u32 s0, 0, s9
	v_readfirstlane_b32 s5, v9
	v_readfirstlane_b32 s24, v10
	s_subb_u32 s1, 0, 0
	s_mul_hi_u32 s20, s0, s5
	s_mul_i32 s25, s0, s24
	s_mul_i32 s14, s1, s5
	s_add_i32 s20, s20, s25
	s_add_i32 s20, s20, s14
	s_mul_i32 s26, s0, s5
	s_mul_hi_u32 s14, s5, s20
	s_mul_i32 s25, s5, s20
	s_mul_hi_u32 s5, s5, s26
	s_add_u32 s5, s5, s25
	s_addc_u32 s14, 0, s14
	s_mul_hi_u32 s27, s24, s26
	s_mul_i32 s26, s24, s26
	s_add_u32 s5, s5, s26
	s_mul_hi_u32 s25, s24, s20
	s_addc_u32 s5, s14, s27
	s_addc_u32 s14, s25, 0
	s_mul_i32 s20, s24, s20
	s_add_u32 s5, s5, s20
	s_addc_u32 s14, 0, s14
	v_add_co_u32_e32 v0, vcc, s5, v9
	s_cmp_lg_u64 vcc, 0
	s_addc_u32 s5, s24, s14
	v_readfirstlane_b32 s20, v0
	s_mul_i32 s14, s0, s5
	s_mul_hi_u32 s24, s0, s20
	s_add_i32 s14, s24, s14
	s_mul_i32 s1, s1, s20
	s_add_i32 s14, s14, s1
	s_mul_i32 s0, s0, s20
	s_mul_hi_u32 s24, s5, s0
	s_mul_i32 s25, s5, s0
	s_mul_i32 s27, s20, s14
	s_mul_hi_u32 s0, s20, s0
	s_mul_hi_u32 s26, s20, s14
	s_add_u32 s0, s0, s27
	s_addc_u32 s20, 0, s26
	s_add_u32 s0, s0, s25
	s_mul_hi_u32 s1, s5, s14
	s_addc_u32 s0, s20, s24
	s_addc_u32 s1, s1, 0
	s_mul_i32 s14, s5, s14
	s_add_u32 s0, s0, s14
	s_addc_u32 s1, 0, s1
	v_add_co_u32_e32 v0, vcc, s0, v0
	s_cmp_lg_u64 vcc, 0
	s_addc_u32 s5, s5, s1
	s_ashr_i32 s0, s11, 31
	s_add_u32 s24, s4, s0
	s_mov_b32 s1, s0
	s_addc_u32 s25, s11, s0
	s_xor_b64 s[24:25], s[24:25], s[0:1]
	v_readfirstlane_b32 s14, v0
	s_mul_i32 s11, s24, s5
	s_mul_hi_u32 s20, s24, s14
	s_mul_hi_u32 s1, s24, s5
	s_add_u32 s11, s20, s11
	s_addc_u32 s1, 0, s1
	s_mul_hi_u32 s26, s25, s14
	s_mul_i32 s14, s25, s14
	s_add_u32 s11, s11, s14
	s_mul_hi_u32 s20, s25, s5
	s_addc_u32 s1, s1, s26
	s_addc_u32 s11, s20, 0
	s_mul_i32 s5, s25, s5
	s_add_u32 s1, s1, s5
	s_addc_u32 s5, 0, s11
	s_mul_i32 s5, s9, s5
	s_mul_hi_u32 s20, s9, s1
	s_add_i32 s20, s20, s5
	s_mul_i32 s5, s9, s1
	v_mov_b32_e32 v0, s5
	s_add_u32 s11, s1, 1
	s_add_u32 s14, s1, 2
	v_sub_co_u32_e32 v0, vcc, s24, v0
	s_cmp_lg_u64 vcc, 0
	s_subb_u32 s5, s25, s20
	v_subrev_co_u32_e32 v1, vcc, s9, v0
	s_cmp_lg_u64 vcc, 0
	s_subb_u32 s20, s5, 0
	v_cmp_le_u32_e32 vcc, s9, v1
	s_cmp_eq_u32 s20, 0
	v_cndmask_b32_e64 v1, 0, -1, vcc
	s_cselect_b64 vcc, -1, 0
	v_cndmask_b32_e32 v1, -1, v1, vcc
	v_mov_b32_e32 v13, s11
	v_mov_b32_e32 v14, s14
	v_cmp_ne_u32_e32 vcc, 0, v1
	v_cndmask_b32_e32 v1, v13, v14, vcc
	v_cmp_le_u32_e32 vcc, s9, v0
	s_cmp_eq_u32 s5, 0
	v_cndmask_b32_e64 v0, 0, -1, vcc
	s_cselect_b64 vcc, -1, 0
	v_cndmask_b32_e32 v0, -1, v0, vcc
	v_mov_b32_e32 v13, s1
	v_cmp_ne_u32_e32 vcc, 0, v0
	v_cndmask_b32_e32 v0, v13, v1, vcc
	v_xor_b32_e32 v0, s0, v0
	v_subrev_co_u32_e32 v0, vcc, s0, v0
	s_cbranch_execnz .LBB3_11
.LBB3_10:
	s_sub_i32 s0, 0, s9
	v_mul_lo_u32 v0, s0, v11
	v_mul_hi_u32 v0, v11, v0
	v_add_u32_e32 v0, v11, v0
	v_mul_hi_u32 v0, s4, v0
	v_mul_lo_u32 v13, v0, s9
	v_sub_u32_e32 v13, s4, v13
	v_add_u32_e32 v1, 1, v0
	v_subrev_u32_e32 v14, s9, v13
	v_cmp_le_u32_e32 vcc, s9, v13
	v_cndmask_b32_e32 v13, v13, v14, vcc
	v_cndmask_b32_e32 v0, v0, v1, vcc
	v_add_u32_e32 v1, 1, v0
	v_cmp_le_u32_e32 vcc, s9, v13
	v_cndmask_b32_e32 v0, v0, v1, vcc
.LBB3_11:
	v_cmp_ne_u32_e32 vcc, v8, v0
	s_cbranch_vccz .LBB3_14
; %bb.12:
	s_add_i32 s0, s8, s9
	s_lshl_b32 s0, s0, 5
	v_mul_hi_u32 v1, v0, s16
	s_add_i32 s0, s0, s21
	s_mov_b32 s1, s10
	v_add_u32_e32 v1, v1, v0
	s_lshl_b64 s[0:1], s[0:1], 3
	v_lshrrev_b32_e32 v1, s17, v1
	s_add_u32 s4, s2, s0
	v_mul_lo_u32 v13, v1, s18
	s_addc_u32 s5, s3, s1
	v_cmp_eq_u32_e32 vcc, v13, v0
	v_cmp_gt_u32_e64 s[0:1], s19, v1
	s_or_b64 s[0:1], s[0:1], vcc
	s_and_b64 vcc, exec, s[0:1]
	s_cbranch_vccnz .LBB3_16
; %bb.13:
	s_add_i32 s11, s8, -1
	s_mov_b64 s[0:1], 0
	s_branch .LBB3_17
.LBB3_14:
                                        ; implicit-def: $sgpr0_sgpr1
                                        ; implicit-def: $vgpr14
                                        ; implicit-def: $vgpr1
                                        ; implicit-def: $vgpr13
                                        ; implicit-def: $sgpr11
                                        ; implicit-def: $vgpr0
	s_branch .LBB3_18
.LBB3_15:
                                        ; implicit-def: $vgpr0_vgpr1
	s_branch .LBB3_10
.LBB3_16:
	s_mov_b64 s[0:1], -1
	s_mov_b32 s11, s8
	v_mov_b32_e32 v0, v8
.LBB3_17:
	v_lshl_add_u32 v14, s8, 12, v4
	v_ashrrev_i32_e32 v15, 31, v14
	v_lshlrev_b64 v[14:15], 2, v[14:15]
	v_mov_b32_e32 v1, s23
	v_add_co_u32_e32 v14, vcc, s22, v14
	v_addc_co_u32_e32 v15, vcc, v1, v15, vcc
	global_load_dword v14, v[14:15], off
	s_load_dwordx2 s[4:5], s[4:5], 0x0
	v_max_f32_e32 v1, v7, v7
	s_waitcnt lgkmcnt(0)
	v_max_f32_e64 v13, s4, s4
	v_max_f32_e32 v1, v1, v13
	v_sub_f32_e32 v13, v7, v1
	v_sub_f32_e32 v15, s4, v1
	v_mul_f32_e32 v16, 0x3fb8aa3b, v13
	v_mul_f32_e32 v17, 0x3fb8aa3b, v15
	v_fma_f32 v18, v13, s6, -v16
	v_rndne_f32_e32 v19, v16
	v_fma_f32 v20, v15, s6, -v17
	v_rndne_f32_e32 v21, v17
	v_fmac_f32_e32 v18, 0x32a5705f, v13
	v_sub_f32_e32 v16, v16, v19
	v_fmac_f32_e32 v20, 0x32a5705f, v15
	v_sub_f32_e32 v17, v17, v21
	v_add_f32_e32 v16, v16, v18
	v_cvt_i32_f32_e32 v19, v19
	v_add_f32_e32 v17, v17, v20
	v_exp_f32_e32 v16, v16
	v_cvt_i32_f32_e32 v21, v21
	v_exp_f32_e32 v17, v17
	v_cmp_ngt_f32_e32 vcc, s7, v13
	v_ldexp_f32 v16, v16, v19
	v_cndmask_b32_e32 v16, 0, v16, vcc
	v_ldexp_f32 v17, v17, v21
	v_cmp_ngt_f32_e32 vcc, s7, v15
	v_cndmask_b32_e32 v17, 0, v17, vcc
	v_cmp_nlt_f32_e32 vcc, s12, v13
	v_cndmask_b32_e32 v16, v12, v16, vcc
	v_cmp_nlt_f32_e32 vcc, s12, v15
	v_cndmask_b32_e32 v17, v12, v17, vcc
	v_cmp_le_f32_e32 vcc, s13, v13
	v_cndmask_b32_e32 v16, 0, v16, vcc
	v_cmp_le_f32_e32 vcc, s13, v15
	v_cndmask_b32_e32 v15, 0, v17, vcc
	v_mul_f32_e32 v13, s5, v15
	v_fmac_f32_e32 v13, v6, v16
	s_waitcnt vmcnt(0)
	v_mul_f32_e32 v14, v14, v15
	v_fmac_f32_e32 v14, v5, v16
	s_cbranch_execnz .LBB3_19
.LBB3_18:
	s_add_i32 s11, s8, -1
	s_mov_b64 s[0:1], 0
	v_mov_b32_e32 v0, v8
	v_mov_b32_e32 v13, v6
	v_mov_b32_e32 v1, v7
	s_waitcnt vmcnt(0)
	v_mov_b32_e32 v14, v5
.LBB3_19:
	s_andn2_b64 vcc, exec, s[0:1]
	s_cbranch_vccz .LBB3_23
; %bb.20:
	v_mov_b32_e32 v8, v0
	s_mov_b32 s8, s11
	v_mov_b32_e32 v6, v13
	v_mov_b32_e32 v7, v1
	s_waitcnt vmcnt(0)
	v_mov_b32_e32 v5, v14
	s_mul_hi_i32 s11, s8, s15
	s_cmp_lg_u64 s[10:11], 0
	s_mul_i32 s4, s8, s15
	s_cbranch_scc1 .LBB3_9
	s_branch .LBB3_15
.LBB3_21:
                                        ; implicit-def: $sgpr20_sgpr21
	s_load_dwordx4 s[16:19], s[4:5], 0x44
	s_branch .LBB3_2
.LBB3_22:
                                        ; implicit-def: $vgpr2_vgpr3
	s_branch .LBB3_5
.LBB3_23:
	v_div_scale_f32 v0, s[0:1], v13, v13, v14
	v_rcp_f32_e32 v1, v0
	v_div_scale_f32 v4, vcc, v14, v13, v14
	s_waitcnt vmcnt(0)
	v_fma_f32 v5, -v0, v1, 1.0
	v_fmac_f32_e32 v1, v5, v1
	v_mul_f32_e32 v5, v4, v1
	v_fma_f32 v6, -v0, v5, v4
	v_fmac_f32_e32 v5, v6, v1
	v_fma_f32 v0, -v0, v5, v4
	v_div_fmas_f32 v0, v0, v1, v5
	v_div_fixup_f32 v0, v0, v13, v14
	global_store_dword v[2:3], v0, off
.LBB3_24:
	s_endpgm
	.section	.rodata,"a",@progbits
	.p2align	6, 0x0
	.amdhsa_kernel _ZL33flash_attn_stream_k_fixup_generalILi128ELi2ELi16EEvPfPK15HIP_vector_typeIfLj2EEiiiiS1_IjLj3EES5_S5_S5_
		.amdhsa_group_segment_fixed_size 0
		.amdhsa_private_segment_fixed_size 0
		.amdhsa_kernarg_size 336
		.amdhsa_user_sgpr_count 6
		.amdhsa_user_sgpr_private_segment_buffer 1
		.amdhsa_user_sgpr_dispatch_ptr 0
		.amdhsa_user_sgpr_queue_ptr 0
		.amdhsa_user_sgpr_kernarg_segment_ptr 1
		.amdhsa_user_sgpr_dispatch_id 0
		.amdhsa_user_sgpr_flat_scratch_init 0
		.amdhsa_user_sgpr_kernarg_preload_length 0
		.amdhsa_user_sgpr_kernarg_preload_offset 0
		.amdhsa_user_sgpr_private_segment_size 0
		.amdhsa_uses_dynamic_stack 0
		.amdhsa_system_sgpr_private_segment_wavefront_offset 0
		.amdhsa_system_sgpr_workgroup_id_x 1
		.amdhsa_system_sgpr_workgroup_id_y 1
		.amdhsa_system_sgpr_workgroup_id_z 1
		.amdhsa_system_sgpr_workgroup_info 0
		.amdhsa_system_vgpr_workitem_id 0
		.amdhsa_next_free_vgpr 22
		.amdhsa_next_free_sgpr 32
		.amdhsa_accum_offset 24
		.amdhsa_reserve_vcc 1
		.amdhsa_reserve_flat_scratch 0
		.amdhsa_float_round_mode_32 0
		.amdhsa_float_round_mode_16_64 0
		.amdhsa_float_denorm_mode_32 3
		.amdhsa_float_denorm_mode_16_64 3
		.amdhsa_dx10_clamp 1
		.amdhsa_ieee_mode 1
		.amdhsa_fp16_overflow 0
		.amdhsa_tg_split 0
		.amdhsa_exception_fp_ieee_invalid_op 0
		.amdhsa_exception_fp_denorm_src 0
		.amdhsa_exception_fp_ieee_div_zero 0
		.amdhsa_exception_fp_ieee_overflow 0
		.amdhsa_exception_fp_ieee_underflow 0
		.amdhsa_exception_fp_ieee_inexact 0
		.amdhsa_exception_int_div_zero 0
	.end_amdhsa_kernel
	.section	.text._ZL33flash_attn_stream_k_fixup_generalILi128ELi2ELi16EEvPfPK15HIP_vector_typeIfLj2EEiiiiS1_IjLj3EES5_S5_S5_,"axG",@progbits,_ZL33flash_attn_stream_k_fixup_generalILi128ELi2ELi16EEvPfPK15HIP_vector_typeIfLj2EEiiiiS1_IjLj3EES5_S5_S5_,comdat
.Lfunc_end3:
	.size	_ZL33flash_attn_stream_k_fixup_generalILi128ELi2ELi16EEvPfPK15HIP_vector_typeIfLj2EEiiiiS1_IjLj3EES5_S5_S5_, .Lfunc_end3-_ZL33flash_attn_stream_k_fixup_generalILi128ELi2ELi16EEvPfPK15HIP_vector_typeIfLj2EEiiiiS1_IjLj3EES5_S5_S5_
                                        ; -- End function
	.section	.AMDGPU.csdata,"",@progbits
; Kernel info:
; codeLenInByte = 2824
; NumSgprs: 36
; NumVgprs: 22
; NumAgprs: 0
; TotalNumVgprs: 22
; ScratchSize: 0
; MemoryBound: 0
; FloatMode: 240
; IeeeMode: 1
; LDSByteSize: 0 bytes/workgroup (compile time only)
; SGPRBlocks: 4
; VGPRBlocks: 2
; NumSGPRsForWavesPerEU: 36
; NumVGPRsForWavesPerEU: 22
; AccumOffset: 24
; Occupancy: 8
; WaveLimiterHint : 0
; COMPUTE_PGM_RSRC2:SCRATCH_EN: 0
; COMPUTE_PGM_RSRC2:USER_SGPR: 6
; COMPUTE_PGM_RSRC2:TRAP_HANDLER: 0
; COMPUTE_PGM_RSRC2:TGID_X_EN: 1
; COMPUTE_PGM_RSRC2:TGID_Y_EN: 1
; COMPUTE_PGM_RSRC2:TGID_Z_EN: 1
; COMPUTE_PGM_RSRC2:TIDIG_COMP_CNT: 0
; COMPUTE_PGM_RSRC3_GFX90A:ACCUM_OFFSET: 5
; COMPUTE_PGM_RSRC3_GFX90A:TG_SPLIT: 0
	.section	.text._ZL26flash_attn_combine_resultsILi128EEvPKfPK15HIP_vector_typeIfLj2EEPfi,"axG",@progbits,_ZL26flash_attn_combine_resultsILi128EEvPKfPK15HIP_vector_typeIfLj2EEPfi,comdat
	.globl	_ZL26flash_attn_combine_resultsILi128EEvPKfPK15HIP_vector_typeIfLj2EEPfi ; -- Begin function _ZL26flash_attn_combine_resultsILi128EEvPKfPK15HIP_vector_typeIfLj2EEPfi
	.p2align	8
	.type	_ZL26flash_attn_combine_resultsILi128EEvPKfPK15HIP_vector_typeIfLj2EEPfi,@function
_ZL26flash_attn_combine_resultsILi128EEvPKfPK15HIP_vector_typeIfLj2EEPfi: ; @_ZL26flash_attn_combine_resultsILi128EEvPKfPK15HIP_vector_typeIfLj2EEPfi
; %bb.0:
	s_load_dwordx2 s[10:11], s[4:5], 0x20
	s_load_dword s17, s[4:5], 0x18
	s_load_dwordx4 s[0:3], s[4:5], 0x0
	s_load_dwordx2 s[14:15], s[4:5], 0x10
	s_waitcnt lgkmcnt(0)
	s_mul_i32 s4, s10, s8
	s_add_i32 s4, s4, s6
	s_mul_i32 s16, s4, s11
	s_add_i32 s16, s16, s7
	s_lshl_b32 s18, s17, 1
	s_mul_i32 s4, s16, s17
	v_cmp_gt_i32_e32 vcc, s18, v0
	s_and_saveexec_b64 s[6:7], vcc
	s_cbranch_execz .LBB4_13
; %bb.1:
	v_xad_u32 v1, v0, -1, s18
	s_movk_i32 s8, 0x7f
	s_ashr_i32 s5, s4, 31
	v_cmp_lt_u32_e32 vcc, s8, v1
	s_mov_b64 s[10:11], -1
	v_mov_b32_e32 v2, v0
	s_and_saveexec_b64 s[8:9], vcc
	s_cbranch_execz .LBB4_10
; %bb.2:
	v_lshrrev_b32_e32 v6, 7, v1
	s_lshl_b64 s[10:11], s[4:5], 3
	v_add_u32_e32 v2, -1, v6
	s_add_u32 s19, s2, s10
	v_or_b32_e32 v1, 0x80, v0
	v_lshrrev_b32_e32 v3, 1, v2
	s_addc_u32 s20, s3, s11
	v_add_u32_e32 v7, 1, v3
	v_cmp_lt_u32_e32 vcc, 13, v2
	v_mov_b32_e32 v4, 0
	v_pk_mov_b32 v[2:3], v[0:1], v[0:1] op_sel:[0,1]
	s_and_saveexec_b64 s[10:11], vcc
	s_cbranch_execz .LBB4_6
; %bb.3:
	v_and_b32_e32 v8, -8, v7
	s_mov_b32 s21, 0
	v_lshl_add_u32 v9, v0, 2, 0
	s_mov_b64 s[12:13], 0
	v_mov_b32_e32 v10, s20
	v_mov_b32_e32 v5, 0
	v_pk_mov_b32 v[2:3], v[0:1], v[0:1] op_sel:[0,1]
.LBB4_4:                                ; =>This Inner Loop Header: Depth=1
	v_mov_b32_e32 v4, v2
	v_lshlrev_b64 v[26:27], 2, v[4:5]
	v_add_u32_e32 v12, 0x100, v3
	v_mov_b32_e32 v13, v5
	v_add_co_u32_e32 v26, vcc, s19, v26
	v_lshlrev_b64 v[12:13], 2, v[12:13]
	v_addc_co_u32_e32 v27, vcc, v10, v27, vcc
	v_add_u32_e32 v14, 0x200, v3
	v_mov_b32_e32 v15, v5
	v_add_co_u32_e32 v12, vcc, s19, v12
	v_lshlrev_b64 v[14:15], 2, v[14:15]
	v_addc_co_u32_e32 v13, vcc, v10, v13, vcc
	;; [unrolled: 5-line block ×7, first 2 shown]
	v_mov_b32_e32 v4, v3
	v_add_co_u32_e32 v24, vcc, s19, v24
	v_lshlrev_b64 v[28:29], 2, v[4:5]
	v_addc_co_u32_e32 v25, vcc, v10, v25, vcc
	v_add_u32_e32 v4, 0x100, v2
	v_add_co_u32_e32 v28, vcc, s19, v28
	v_addc_co_u32_e32 v29, vcc, v10, v29, vcc
	global_load_dword v1, v[26:27], off
	v_lshlrev_b64 v[26:27], 2, v[4:5]
	v_add_u32_e32 v4, 0x200, v2
	v_add_co_u32_e32 v26, vcc, s19, v26
	v_addc_co_u32_e32 v27, vcc, v10, v27, vcc
	v_lshlrev_b64 v[30:31], 2, v[4:5]
	v_add_u32_e32 v4, 0x300, v2
	global_load_dword v11, v[28:29], off
	global_load_dword v32, v[26:27], off
	;; [unrolled: 1-line block ×3, first 2 shown]
	v_add_co_u32_e32 v12, vcc, s19, v30
	v_addc_co_u32_e32 v13, vcc, v10, v31, vcc
	v_lshlrev_b64 v[26:27], 2, v[4:5]
	v_add_u32_e32 v4, 0x400, v2
	v_add_co_u32_e32 v26, vcc, s19, v26
	v_addc_co_u32_e32 v27, vcc, v10, v27, vcc
	v_lshlrev_b64 v[28:29], 2, v[4:5]
	v_add_u32_e32 v4, 0x500, v2
	global_load_dword v30, v[12:13], off
	global_load_dword v31, v[14:15], off
	global_load_dword v34, v[26:27], off
	global_load_dword v35, v[16:17], off
	v_add_co_u32_e32 v12, vcc, s19, v28
	v_addc_co_u32_e32 v13, vcc, v10, v29, vcc
	v_lshlrev_b64 v[14:15], 2, v[4:5]
	v_add_u32_e32 v4, 0x600, v2
	v_add_co_u32_e32 v14, vcc, s19, v14
	v_addc_co_u32_e32 v15, vcc, v10, v15, vcc
	v_lshlrev_b64 v[16:17], 2, v[4:5]
	v_add_u32_e32 v4, 0x700, v2
	global_load_dword v26, v[12:13], off
	global_load_dword v27, v[18:19], off
	;; [unrolled: 1-line block ×4, first 2 shown]
	v_add_co_u32_e32 v12, vcc, s19, v16
	v_addc_co_u32_e32 v13, vcc, v10, v17, vcc
	v_lshlrev_b64 v[14:15], 2, v[4:5]
	v_add_co_u32_e32 v14, vcc, s19, v14
	v_addc_co_u32_e32 v15, vcc, v10, v15, vcc
	global_load_dword v16, v[12:13], off
	global_load_dword v17, v[22:23], off
	;; [unrolled: 1-line block ×4, first 2 shown]
	v_add_u32_e32 v8, -8, v8
	s_add_i32 s21, s21, 16
	v_cmp_eq_u32_e32 vcc, 0, v8
	v_add_u32_e32 v3, 0x800, v3
	v_mov_b32_e32 v4, s21
	s_or_b64 s[12:13], vcc, s[12:13]
	v_add_u32_e32 v2, 0x800, v2
	s_waitcnt vmcnt(14)
	ds_write2st64_b32 v9, v1, v11 offset1:2
	s_waitcnt vmcnt(12)
	ds_write2st64_b32 v9, v32, v33 offset0:4 offset1:6
	s_waitcnt vmcnt(10)
	ds_write2st64_b32 v9, v30, v31 offset0:8 offset1:10
	;; [unrolled: 2-line block ×7, first 2 shown]
	v_add_u32_e32 v9, 0x2000, v9
	s_andn2_b64 exec, exec, s[12:13]
	s_cbranch_execnz .LBB4_4
; %bb.5:
	s_or_b64 exec, exec, s[12:13]
.LBB4_6:
	s_or_b64 exec, exec, s[10:11]
	v_and_b32_e32 v1, 7, v7
	v_cmp_ne_u32_e32 vcc, 0, v1
	s_and_saveexec_b64 s[10:11], vcc
	s_cbranch_execz .LBB4_9
; %bb.7:
	v_lshlrev_b32_e32 v5, 2, v0
	v_lshl_or_b32 v4, v4, 9, v5
	v_add_u32_e32 v7, 0, v4
	s_mov_b64 s[12:13], 0
	v_mov_b32_e32 v8, s20
	v_mov_b32_e32 v5, 0
.LBB4_8:                                ; =>This Inner Loop Header: Depth=1
	v_mov_b32_e32 v4, v2
	v_lshlrev_b64 v[10:11], 2, v[4:5]
	v_mov_b32_e32 v4, v3
	v_add_co_u32_e32 v10, vcc, s19, v10
	v_addc_co_u32_e32 v11, vcc, v8, v11, vcc
	v_lshlrev_b64 v[12:13], 2, v[4:5]
	v_add_co_u32_e32 v12, vcc, s19, v12
	v_addc_co_u32_e32 v13, vcc, v8, v13, vcc
	global_load_dword v4, v[10:11], off
	global_load_dword v9, v[12:13], off
	v_add_u32_e32 v1, -1, v1
	v_cmp_eq_u32_e32 vcc, 0, v1
	v_add_u32_e32 v2, 0x100, v2
	v_add_u32_e32 v3, 0x100, v3
	s_or_b64 s[12:13], vcc, s[12:13]
	s_waitcnt vmcnt(0)
	ds_write2st64_b32 v7, v4, v9 offset1:2
	v_add_u32_e32 v7, 0x400, v7
	s_andn2_b64 exec, exec, s[12:13]
	s_cbranch_execnz .LBB4_8
.LBB4_9:
	s_or_b64 exec, exec, s[10:11]
	v_add_u32_e32 v1, 1, v6
	v_and_b32_e32 v3, 0x3fffffe, v1
	v_cmp_ne_u32_e32 vcc, v1, v3
	v_lshl_or_b32 v2, v3, 7, v0
	s_orn2_b64 s[10:11], vcc, exec
.LBB4_10:
	s_or_b64 exec, exec, s[8:9]
	s_and_b64 exec, exec, s[10:11]
	s_cbranch_execz .LBB4_13
; %bb.11:
	s_lshl_b64 s[8:9], s[4:5], 3
	v_mov_b32_e32 v3, 0
	s_add_u32 s2, s2, s8
	v_lshlrev_b64 v[4:5], 2, v[2:3]
	s_addc_u32 s3, s3, s9
	v_mov_b32_e32 v1, s3
	v_add_co_u32_e32 v4, vcc, s2, v4
	v_addc_co_u32_e32 v5, vcc, v1, v5, vcc
	v_lshl_add_u32 v1, v2, 2, 0
	s_mov_b64 s[2:3], 0
.LBB4_12:                               ; =>This Inner Loop Header: Depth=1
	global_load_dword v3, v[4:5], off
	v_add_co_u32_e32 v4, vcc, 0x200, v4
	v_add_u32_e32 v2, 0x80, v2
	v_addc_co_u32_e32 v5, vcc, 0, v5, vcc
	v_cmp_le_i32_e32 vcc, s18, v2
	s_or_b64 s[2:3], vcc, s[2:3]
	s_waitcnt vmcnt(0)
	ds_write_b32 v1, v3
	v_add_u32_e32 v1, 0x200, v1
	s_andn2_b64 exec, exec, s[2:3]
	s_cbranch_execnz .LBB4_12
.LBB4_13:
	s_or_b64 exec, exec, s[6:7]
	v_mov_b32_e32 v1, 0
	s_waitcnt lgkmcnt(0)
	s_barrier
	ds_read_b32 v1, v1
	s_cmp_lt_i32 s17, 2
	s_cbranch_scc1 .LBB4_21
; %bb.14:
	s_add_i32 s2, s17, -1
	s_add_i32 s3, s17, -2
	s_cmp_lt_u32 s3, 7
	s_cbranch_scc1 .LBB4_18
; %bb.15:
	s_mov_b32 s6, 0
	s_add_i32 s3, 0, 8
	s_and_b32 s5, s2, -8
.LBB4_16:                               ; =>This Inner Loop Header: Depth=1
	v_mov_b32_e32 v8, s3
	ds_read2_b32 v[2:3], v8 offset1:2
	ds_read2_b32 v[4:5], v8 offset0:4 offset1:6
	ds_read2_b32 v[6:7], v8 offset0:8 offset1:10
	ds_read2_b32 v[8:9], v8 offset0:12 offset1:14
	s_mov_b32 s7, s6
	s_waitcnt lgkmcnt(3)
	v_max3_f32 v1, v1, v2, v3
	s_waitcnt lgkmcnt(2)
	v_max3_f32 v1, v1, v4, v5
	s_add_i32 s3, s3, 64
	s_add_i32 s6, s6, 8
	s_waitcnt lgkmcnt(1)
	v_max3_f32 v1, v1, v6, v7
	s_cmp_eq_u32 s5, s6
	s_waitcnt lgkmcnt(0)
	v_max3_f32 v1, v1, v8, v9
	s_cbranch_scc0 .LBB4_16
; %bb.17:
	s_add_i32 s3, s7, 9
	s_and_b32 s2, s2, 7
	s_cmp_eq_u32 s2, 0
	s_cbranch_scc0 .LBB4_19
	s_branch .LBB4_21
.LBB4_18:
	s_mov_b32 s3, 1
	s_and_b32 s2, s2, 7
	s_cmp_eq_u32 s2, 0
	s_cbranch_scc1 .LBB4_21
.LBB4_19:
	s_lshl_b32 s3, s3, 3
	s_add_i32 s3, s3, 0
.LBB4_20:                               ; =>This Inner Loop Header: Depth=1
	v_mov_b32_e32 v2, s3
	ds_read_b32 v2, v2
	s_waitcnt lgkmcnt(1)
	v_max_f32_e32 v1, v1, v1
	s_add_i32 s3, s3, 8
	s_add_i32 s2, s2, -1
	s_cmp_lg_u32 s2, 0
	s_waitcnt lgkmcnt(0)
	v_max_f32_e32 v2, v2, v2
	v_max_f32_e32 v1, v1, v2
	s_cbranch_scc1 .LBB4_20
.LBB4_21:
	s_cmp_lt_i32 s17, 1
	s_cbranch_scc1 .LBB4_26
; %bb.22:
	s_lshl_b32 s2, s4, 7
	s_ashr_i32 s3, s2, 31
	s_lshl_b64 s[2:3], s[2:3], 2
	s_add_u32 s18, s0, s2
	s_addc_u32 s19, s1, s3
	s_cmp_lt_u32 s17, 8
	v_mov_b32_e32 v6, 0
	s_cbranch_scc1 .LBB4_27
; %bb.23:
	s_and_b32 s20, s17, 0x7ffffff8
	v_or_b32_e32 v2, 0x380, v0
	s_mov_b32 s21, 0
	v_mov_b32_e32 v5, 0
	s_mov_b32 s22, 0x3fb8aa3b
	s_mov_b32 s23, 0xc2ce8ed0
	;; [unrolled: 1-line block ×3, first 2 shown]
	v_mov_b32_e32 v8, 0x7f800000
	v_mov_b32_e32 v9, s19
	s_mov_b32 s25, 0
	v_mov_b32_e32 v7, 0
	v_mov_b32_e32 v6, 0
.LBB4_24:                               ; =>This Inner Loop Header: Depth=1
	v_add_u32_e32 v4, 0xfffffc80, v2
	v_lshlrev_b64 v[26:27], 2, v[4:5]
	v_mov_b32_e32 v3, v5
	v_add_co_u32_e32 v26, vcc, s18, v26
	v_lshlrev_b64 v[28:29], 2, v[2:3]
	v_addc_co_u32_e32 v27, vcc, v9, v27, vcc
	v_add_u32_e32 v4, 0xfffffd00, v2
	v_add_co_u32_e32 v28, vcc, s18, v28
	v_mov_b32_e32 v22, s21
	v_lshlrev_b64 v[30:31], 2, v[4:5]
	v_addc_co_u32_e32 v29, vcc, v9, v29, vcc
	ds_read2_b64 v[10:13], v22 offset1:1
	ds_read2_b64 v[14:17], v22 offset0:2 offset1:3
	ds_read2_b64 v[18:21], v22 offset0:4 offset1:5
	ds_read2_b64 v[22:25], v22 offset0:6 offset1:7
	v_add_u32_e32 v4, 0xfffffd80, v2
	global_load_dword v3, v[26:27], off
	v_add_co_u32_e32 v26, vcc, s18, v30
	v_addc_co_u32_e32 v27, vcc, v9, v31, vcc
	v_lshlrev_b64 v[30:31], 2, v[4:5]
	v_add_u32_e32 v4, 0xfffffe00, v2
	v_add_co_u32_e32 v30, vcc, s18, v30
	v_addc_co_u32_e32 v31, vcc, v9, v31, vcc
	v_lshlrev_b64 v[32:33], 2, v[4:5]
	v_add_u32_e32 v4, 0xfffffe80, v2
	global_load_dword v34, v[26:27], off
	global_load_dword v35, v[30:31], off
	v_add_co_u32_e32 v26, vcc, s18, v32
	v_addc_co_u32_e32 v27, vcc, v9, v33, vcc
	v_lshlrev_b64 v[30:31], 2, v[4:5]
	v_add_u32_e32 v4, 0xffffff00, v2
	v_add_co_u32_e32 v30, vcc, s18, v30
	v_addc_co_u32_e32 v31, vcc, v9, v31, vcc
	v_lshlrev_b64 v[32:33], 2, v[4:5]
	global_load_dword v36, v[26:27], off
	v_add_u32_e32 v4, 0xffffff80, v2
	global_load_dword v28, v[28:29], off
	v_add_co_u32_e32 v26, vcc, s18, v32
	v_addc_co_u32_e32 v27, vcc, v9, v33, vcc
	global_load_dword v42, v[30:31], off
	s_waitcnt lgkmcnt(3)
	v_sub_f32_e32 v12, v12, v1
	global_load_dword v26, v[26:27], off
	v_lshlrev_b64 v[30:31], 2, v[4:5]
	v_add_co_u32_e32 v30, vcc, s18, v30
	v_addc_co_u32_e32 v31, vcc, v9, v31, vcc
	global_load_dword v30, v[30:31], off
	s_waitcnt lgkmcnt(2)
	v_sub_f32_e32 v14, v14, v1
	v_sub_f32_e32 v10, v10, v1
	v_mul_f32_e32 v38, 0x3fb8aa3b, v12
	v_mul_f32_e32 v39, 0x3fb8aa3b, v14
	s_waitcnt lgkmcnt(1)
	v_sub_f32_e32 v18, v18, v1
	s_waitcnt lgkmcnt(0)
	v_sub_f32_e32 v22, v22, v1
	v_mul_f32_e32 v37, 0x3fb8aa3b, v10
	v_fma_f32 v45, v12, s22, -v38
	v_rndne_f32_e32 v46, v38
	v_fma_f32 v47, v14, s22, -v39
	v_rndne_f32_e32 v48, v39
	v_sub_f32_e32 v16, v16, v1
	v_sub_f32_e32 v20, v20, v1
	v_mul_f32_e32 v41, 0x3fb8aa3b, v18
	v_mul_f32_e32 v32, 0x3fb8aa3b, v22
	v_fma_f32 v33, v10, s22, -v37
	v_rndne_f32_e32 v44, v37
	v_fmac_f32_e32 v45, 0x32a5705f, v12
	v_sub_f32_e32 v38, v38, v46
	v_fmac_f32_e32 v47, 0x32a5705f, v14
	v_sub_f32_e32 v39, v39, v48
	v_mul_f32_e32 v40, 0x3fb8aa3b, v16
	v_mul_f32_e32 v43, 0x3fb8aa3b, v20
	v_fma_f32 v27, v18, s22, -v41
	v_rndne_f32_e32 v31, v41
	v_fmac_f32_e32 v33, 0x32a5705f, v10
	v_sub_f32_e32 v37, v37, v44
	v_add_f32_e32 v38, v38, v45
	v_fma_f32 v45, v22, s22, -v32
	v_add_f32_e32 v39, v39, v47
	v_rndne_f32_e32 v47, v32
	v_fma_f32 v49, v16, s22, -v40
	v_rndne_f32_e32 v50, v40
	v_fma_f32 v29, v20, s22, -v43
	v_add_f32_e32 v33, v37, v33
	v_rndne_f32_e32 v37, v43
	v_fmac_f32_e32 v27, 0x32a5705f, v18
	v_sub_f32_e32 v41, v41, v31
	v_fmac_f32_e32 v45, 0x32a5705f, v22
	v_sub_f32_e32 v32, v32, v47
	;; [unrolled: 2-line block ×3, first 2 shown]
	v_add_f32_e32 v27, v41, v27
	v_cvt_i32_f32_e32 v44, v44
	v_fmac_f32_e32 v29, 0x32a5705f, v20
	v_sub_f32_e32 v43, v43, v37
	v_add_f32_e32 v32, v32, v45
	v_exp_f32_e32 v33, v33
	v_add_f32_e32 v40, v40, v49
	v_cvt_i32_f32_e32 v46, v46
	v_cvt_i32_f32_e32 v31, v31
	;; [unrolled: 1-line block ×3, first 2 shown]
	v_add_f32_e32 v29, v43, v29
	v_exp_f32_e32 v38, v38
	v_exp_f32_e32 v27, v27
	;; [unrolled: 1-line block ×3, first 2 shown]
	v_sub_f32_e32 v24, v24, v1
	v_cvt_i32_f32_e32 v48, v48
	v_cvt_i32_f32_e32 v50, v50
	;; [unrolled: 1-line block ×3, first 2 shown]
	v_exp_f32_e32 v39, v39
	v_exp_f32_e32 v40, v40
	;; [unrolled: 1-line block ×3, first 2 shown]
	v_mul_f32_e32 v4, 0x3fb8aa3b, v24
	v_fma_f32 v49, v24, s22, -v4
	v_rndne_f32_e32 v41, v4
	v_ldexp_f32 v33, v33, v44
	v_cmp_ngt_f32_e64 s[12:13], s23, v10
	v_fmac_f32_e32 v49, 0x32a5705f, v24
	v_sub_f32_e32 v4, v4, v41
	v_ldexp_f32 v38, v38, v46
	v_cmp_ngt_f32_e32 vcc, s23, v12
	v_ldexp_f32 v27, v27, v31
	v_ldexp_f32 v31, v32, v47
	v_cndmask_b32_e64 v32, 0, v33, s[12:13]
	v_cmp_nlt_f32_e64 s[12:13], s24, v10
	v_add_f32_e32 v4, v4, v49
	v_ldexp_f32 v39, v39, v48
	v_cmp_ngt_f32_e64 s[0:1], s23, v14
	v_ldexp_f32 v40, v40, v50
	v_cmp_ngt_f32_e64 s[2:3], s23, v16
	v_cmp_ngt_f32_e64 s[4:5], s23, v18
	v_ldexp_f32 v29, v29, v37
	v_cmp_ngt_f32_e64 s[6:7], s23, v20
	v_cmp_ngt_f32_e64 s[8:9], s23, v22
	v_cndmask_b32_e32 v33, 0, v38, vcc
	v_cmp_nlt_f32_e32 vcc, s24, v12
	v_cndmask_b32_e64 v10, v8, v32, s[12:13]
	v_cvt_i32_f32_e32 v41, v41
	v_exp_f32_e32 v4, v4
	v_cndmask_b32_e64 v12, 0, v39, s[0:1]
	v_cmp_nlt_f32_e64 s[0:1], s24, v14
	v_cndmask_b32_e64 v14, 0, v40, s[2:3]
	v_cmp_nlt_f32_e64 s[2:3], s24, v16
	v_cndmask_b32_e64 v16, 0, v27, s[4:5]
	v_cmp_nlt_f32_e64 s[4:5], s24, v18
	v_cndmask_b32_e64 v18, 0, v29, s[6:7]
	v_cmp_nlt_f32_e64 s[6:7], s24, v20
	v_cndmask_b32_e64 v20, 0, v31, s[8:9]
	v_cmp_nlt_f32_e64 s[8:9], s24, v22
	v_cndmask_b32_e32 v22, v8, v33, vcc
	v_fmac_f32_e32 v7, v10, v11
	s_waitcnt vmcnt(7)
	v_fmac_f32_e32 v6, v3, v10
	v_cndmask_b32_e64 v12, v8, v12, s[0:1]
	v_fmac_f32_e32 v7, v22, v13
	s_waitcnt vmcnt(6)
	v_fmac_f32_e32 v6, v34, v22
	v_cndmask_b32_e64 v14, v8, v14, s[2:3]
	;; [unrolled: 4-line block ×3, first 2 shown]
	v_fmac_f32_e32 v7, v14, v17
	s_waitcnt vmcnt(4)
	v_fmac_f32_e32 v6, v36, v14
	v_ldexp_f32 v4, v4, v41
	v_cmp_ngt_f32_e64 s[10:11], s23, v24
	v_cndmask_b32_e64 v18, v8, v18, s[6:7]
	v_fmac_f32_e32 v7, v16, v19
	s_waitcnt vmcnt(2)
	v_fmac_f32_e32 v6, v42, v16
	v_cndmask_b32_e64 v4, 0, v4, s[10:11]
	v_cmp_nlt_f32_e64 s[10:11], s24, v24
	v_cndmask_b32_e64 v20, v8, v20, s[8:9]
	v_fmac_f32_e32 v7, v18, v21
	s_waitcnt vmcnt(1)
	v_fmac_f32_e32 v6, v26, v18
	s_add_i32 s25, s25, 8
	s_add_i32 s21, s21, 64
	v_cndmask_b32_e64 v4, v8, v4, s[10:11]
	v_fmac_f32_e32 v7, v20, v23
	s_waitcnt vmcnt(0)
	v_fmac_f32_e32 v6, v30, v20
	s_cmp_eq_u32 s20, s25
	v_add_u32_e32 v2, 0x400, v2
	v_fmac_f32_e32 v7, v4, v25
	v_fmac_f32_e32 v6, v28, v4
	s_cbranch_scc0 .LBB4_24
; %bb.25:
	s_and_b32 s0, s17, 7
	s_cmp_eq_u32 s0, 0
	s_cbranch_scc0 .LBB4_28
	s_branch .LBB4_30
.LBB4_26:
	s_waitcnt lgkmcnt(0)
	v_mov_b32_e32 v1, 0x7fc00000
	s_branch .LBB4_31
.LBB4_27:
	s_mov_b32 s20, 0
	v_mov_b32_e32 v7, 0
	s_and_b32 s0, s17, 7
	s_cmp_eq_u32 s0, 0
	s_cbranch_scc1 .LBB4_30
.LBB4_28:
	s_lshl_b32 s1, s20, 3
	v_lshl_or_b32 v2, s20, 7, v0
	s_add_i32 s1, s1, 0
	s_mov_b32 s2, 0x3fb8aa3b
	s_mov_b32 s3, 0xc2ce8ed0
	;; [unrolled: 1-line block ×3, first 2 shown]
	v_mov_b32_e32 v4, 0x7f800000
	v_mov_b32_e32 v3, 0
	;; [unrolled: 1-line block ×3, first 2 shown]
.LBB4_29:                               ; =>This Inner Loop Header: Depth=1
	v_lshlrev_b64 v[8:9], 2, v[2:3]
	v_add_co_u32_e32 v8, vcc, s18, v8
	v_addc_co_u32_e32 v9, vcc, v5, v9, vcc
	global_load_dword v10, v[8:9], off
	v_mov_b32_e32 v8, s1
	ds_read_b64 v[8:9], v8
	s_add_i32 s1, s1, 8
	s_add_i32 s0, s0, -1
	v_add_u32_e32 v2, 0x80, v2
	s_cmp_lg_u32 s0, 0
	s_waitcnt lgkmcnt(0)
	v_sub_f32_e32 v8, v8, v1
	v_mul_f32_e32 v11, 0x3fb8aa3b, v8
	v_fma_f32 v12, v8, s2, -v11
	v_rndne_f32_e32 v13, v11
	v_fmac_f32_e32 v12, 0x32a5705f, v8
	v_sub_f32_e32 v11, v11, v13
	v_add_f32_e32 v11, v11, v12
	v_cvt_i32_f32_e32 v13, v13
	v_exp_f32_e32 v11, v11
	v_cmp_ngt_f32_e32 vcc, s3, v8
	v_ldexp_f32 v11, v11, v13
	v_cndmask_b32_e32 v11, 0, v11, vcc
	v_cmp_nlt_f32_e32 vcc, s4, v8
	v_cndmask_b32_e32 v8, v4, v11, vcc
	v_fmac_f32_e32 v7, v8, v9
	s_waitcnt vmcnt(0)
	v_fmac_f32_e32 v6, v10, v8
	s_cbranch_scc1 .LBB4_29
.LBB4_30:
	s_waitcnt lgkmcnt(0)
	v_div_scale_f32 v1, s[0:1], v7, v7, v6
	v_rcp_f32_e32 v2, v1
	v_div_scale_f32 v3, vcc, v6, v7, v6
	v_fma_f32 v4, -v1, v2, 1.0
	v_fmac_f32_e32 v2, v4, v2
	v_mul_f32_e32 v4, v3, v2
	v_fma_f32 v5, -v1, v4, v3
	v_fmac_f32_e32 v4, v5, v2
	v_fma_f32 v1, -v1, v4, v3
	v_div_fmas_f32 v1, v1, v2, v4
	v_div_fixup_f32 v1, v1, v7, v6
.LBB4_31:
	s_lshl_b32 s0, s16, 7
	s_ashr_i32 s1, s0, 31
	s_lshl_b64 s[0:1], s[0:1], 2
	s_add_u32 s0, s14, s0
	s_addc_u32 s1, s15, s1
	v_lshlrev_b32_e32 v0, 2, v0
	global_store_dword v0, v1, s[0:1]
	s_endpgm
	.section	.rodata,"a",@progbits
	.p2align	6, 0x0
	.amdhsa_kernel _ZL26flash_attn_combine_resultsILi128EEvPKfPK15HIP_vector_typeIfLj2EEPfi
		.amdhsa_group_segment_fixed_size 0
		.amdhsa_private_segment_fixed_size 0
		.amdhsa_kernarg_size 288
		.amdhsa_user_sgpr_count 6
		.amdhsa_user_sgpr_private_segment_buffer 1
		.amdhsa_user_sgpr_dispatch_ptr 0
		.amdhsa_user_sgpr_queue_ptr 0
		.amdhsa_user_sgpr_kernarg_segment_ptr 1
		.amdhsa_user_sgpr_dispatch_id 0
		.amdhsa_user_sgpr_flat_scratch_init 0
		.amdhsa_user_sgpr_kernarg_preload_length 0
		.amdhsa_user_sgpr_kernarg_preload_offset 0
		.amdhsa_user_sgpr_private_segment_size 0
		.amdhsa_uses_dynamic_stack 0
		.amdhsa_system_sgpr_private_segment_wavefront_offset 0
		.amdhsa_system_sgpr_workgroup_id_x 1
		.amdhsa_system_sgpr_workgroup_id_y 1
		.amdhsa_system_sgpr_workgroup_id_z 1
		.amdhsa_system_sgpr_workgroup_info 0
		.amdhsa_system_vgpr_workitem_id 0
		.amdhsa_next_free_vgpr 51
		.amdhsa_next_free_sgpr 26
		.amdhsa_accum_offset 52
		.amdhsa_reserve_vcc 1
		.amdhsa_reserve_flat_scratch 0
		.amdhsa_float_round_mode_32 0
		.amdhsa_float_round_mode_16_64 0
		.amdhsa_float_denorm_mode_32 3
		.amdhsa_float_denorm_mode_16_64 3
		.amdhsa_dx10_clamp 1
		.amdhsa_ieee_mode 1
		.amdhsa_fp16_overflow 0
		.amdhsa_tg_split 0
		.amdhsa_exception_fp_ieee_invalid_op 0
		.amdhsa_exception_fp_denorm_src 0
		.amdhsa_exception_fp_ieee_div_zero 0
		.amdhsa_exception_fp_ieee_overflow 0
		.amdhsa_exception_fp_ieee_underflow 0
		.amdhsa_exception_fp_ieee_inexact 0
		.amdhsa_exception_int_div_zero 0
	.end_amdhsa_kernel
	.section	.text._ZL26flash_attn_combine_resultsILi128EEvPKfPK15HIP_vector_typeIfLj2EEPfi,"axG",@progbits,_ZL26flash_attn_combine_resultsILi128EEvPKfPK15HIP_vector_typeIfLj2EEPfi,comdat
.Lfunc_end4:
	.size	_ZL26flash_attn_combine_resultsILi128EEvPKfPK15HIP_vector_typeIfLj2EEPfi, .Lfunc_end4-_ZL26flash_attn_combine_resultsILi128EEvPKfPK15HIP_vector_typeIfLj2EEPfi
                                        ; -- End function
	.section	.AMDGPU.csdata,"",@progbits
; Kernel info:
; codeLenInByte = 3048
; NumSgprs: 30
; NumVgprs: 51
; NumAgprs: 0
; TotalNumVgprs: 51
; ScratchSize: 0
; MemoryBound: 0
; FloatMode: 240
; IeeeMode: 1
; LDSByteSize: 0 bytes/workgroup (compile time only)
; SGPRBlocks: 3
; VGPRBlocks: 6
; NumSGPRsForWavesPerEU: 30
; NumVGPRsForWavesPerEU: 51
; AccumOffset: 52
; Occupancy: 8
; WaveLimiterHint : 0
; COMPUTE_PGM_RSRC2:SCRATCH_EN: 0
; COMPUTE_PGM_RSRC2:USER_SGPR: 6
; COMPUTE_PGM_RSRC2:TRAP_HANDLER: 0
; COMPUTE_PGM_RSRC2:TGID_X_EN: 1
; COMPUTE_PGM_RSRC2:TGID_Y_EN: 1
; COMPUTE_PGM_RSRC2:TGID_Z_EN: 1
; COMPUTE_PGM_RSRC2:TIDIG_COMP_CNT: 0
; COMPUTE_PGM_RSRC3_GFX90A:ACCUM_OFFSET: 12
; COMPUTE_PGM_RSRC3_GFX90A:TG_SPLIT: 0
	.section	.text._ZL15flash_attn_tileILi192ELi128ELi1ELi16ELb0EEvPKcS1_S1_S1_S1_PKiPfP15HIP_vector_typeIfLj2EEffffjfiS5_IjLj3EEiiiiiiiiiiiliiliiiiil,"axG",@progbits,_ZL15flash_attn_tileILi192ELi128ELi1ELi16ELb0EEvPKcS1_S1_S1_S1_PKiPfP15HIP_vector_typeIfLj2EEffffjfiS5_IjLj3EEiiiiiiiiiiiliiliiiiil,comdat
	.globl	_ZL15flash_attn_tileILi192ELi128ELi1ELi16ELb0EEvPKcS1_S1_S1_S1_PKiPfP15HIP_vector_typeIfLj2EEffffjfiS5_IjLj3EEiiiiiiiiiiiliiliiiiil ; -- Begin function _ZL15flash_attn_tileILi192ELi128ELi1ELi16ELb0EEvPKcS1_S1_S1_S1_PKiPfP15HIP_vector_typeIfLj2EEffffjfiS5_IjLj3EEiiiiiiiiiiiliiliiiiil
	.p2align	8
	.type	_ZL15flash_attn_tileILi192ELi128ELi1ELi16ELb0EEvPKcS1_S1_S1_S1_PKiPfP15HIP_vector_typeIfLj2EEffffjfiS5_IjLj3EEiiiiiiiiiiiliiliiiiil,@function
_ZL15flash_attn_tileILi192ELi128ELi1ELi16ELb0EEvPKcS1_S1_S1_S1_PKiPfP15HIP_vector_typeIfLj2EEffffjfiS5_IjLj3EEiiiiiiiiiiiliiliiiiil: ; @_ZL15flash_attn_tileILi192ELi128ELi1ELi16ELb0EEvPKcS1_S1_S1_S1_PKiPfP15HIP_vector_typeIfLj2EEffffjfiS5_IjLj3EEiiiiiiiiiiiliiliiiiil
; %bb.0:
	s_load_dwordx4 s[28:31], s[4:5], 0x5c
	s_load_dwordx2 s[34:35], s[4:5], 0x80
	s_load_dwordx16 s[12:27], s[4:5], 0x0
	s_mov_b64 s[36:37], 0
	s_waitcnt lgkmcnt(0)
	s_ashr_i32 s0, s31, 31
	s_lshr_b32 s0, s0, 28
	s_add_i32 s0, s31, s0
	s_ashr_i32 s0, s0, 4
	v_cvt_f32_u32_e32 v1, s0
	s_sub_i32 s1, 0, s0
	v_rcp_iflag_f32_e32 v1, v1
	v_mul_f32_e32 v1, 0x4f7ffffe, v1
	v_cvt_u32_f32_e32 v1, v1
	v_readfirstlane_b32 s2, v1
	s_mul_i32 s1, s1, s2
	s_mul_hi_u32 s1, s2, s1
	s_add_i32 s2, s2, s1
	s_mul_hi_u32 s1, s8, s2
	s_mul_i32 s2, s1, s0
	s_sub_i32 s2, s8, s2
	s_add_i32 s3, s1, 1
	s_sub_i32 s9, s2, s0
	s_cmp_ge_u32 s2, s0
	s_cselect_b32 s1, s3, s1
	s_cselect_b32 s2, s9, s2
	s_add_i32 s3, s1, 1
	s_cmp_ge_u32 s2, s0
	s_cselect_b32 s33, s3, s1
	s_abs_i32 s0, s35
	v_cvt_f32_u32_e32 v1, s0
	s_lshl_b32 s1, s8, 4
	s_mul_i32 s8, s33, s31
	s_xor_b32 s2, s31, s35
	v_rcp_iflag_f32_e32 v1, v1
	s_sub_i32 s9, 0, s0
	s_sub_i32 s35, s1, s8
	s_abs_i32 s3, s31
	v_mul_f32_e32 v1, 0x4f7ffffe, v1
	v_cvt_u32_f32_e32 v1, v1
	s_ashr_i32 s2, s2, 31
	v_readfirstlane_b32 s1, v1
	s_mul_i32 s9, s9, s1
	s_mul_hi_u32 s8, s1, s9
	s_add_i32 s1, s1, s8
	s_mul_hi_u32 s1, s3, s1
	s_mul_i32 s8, s1, s0
	s_sub_i32 s3, s3, s8
	s_add_i32 s9, s1, 1
	s_sub_i32 s8, s3, s0
	s_cmp_ge_u32 s3, s0
	s_cselect_b32 s1, s9, s1
	s_cselect_b32 s3, s8, s3
	s_add_i32 s8, s1, 1
	s_cmp_ge_u32 s3, s0
	s_cselect_b32 s0, s8, s1
	s_xor_b32 s0, s0, s2
	s_sub_i32 s39, s0, s2
	s_abs_i32 s38, s39
	v_cvt_f32_u32_e32 v1, s38
	s_load_dwordx2 s[8:9], s[4:5], 0xb8
	s_cmp_eq_u64 s[18:19], 0
	v_rcp_iflag_f32_e32 v1, v1
	v_mul_f32_e32 v1, 0x4f7ffffe, v1
	v_cvt_u32_f32_e32 v1, v1
	v_readfirstlane_b32 s40, v1
	s_cbranch_scc1 .LBB5_2
; %bb.1:
	s_waitcnt lgkmcnt(0)
	s_abs_i32 s2, s8
	v_cvt_f32_u32_e32 v1, s2
	s_sub_i32 s10, 0, s2
	s_abs_i32 s8, s33
	s_ashr_i32 s3, s33, 31
	v_rcp_iflag_f32_e32 v1, v1
	s_load_dwordx2 s[0:1], s[4:5], 0xc8
	v_mul_f32_e32 v1, 0x4f7ffffe, v1
	v_cvt_u32_f32_e32 v1, v1
	v_readfirstlane_b32 s11, v1
	s_mul_i32 s10, s10, s11
	s_mul_hi_u32 s10, s11, s10
	s_add_i32 s11, s11, s10
	s_mul_hi_u32 s10, s8, s11
	s_mul_i32 s10, s10, s2
	s_sub_i32 s8, s8, s10
	s_sub_i32 s10, s8, s2
	s_cmp_ge_u32 s8, s2
	s_cselect_b32 s8, s10, s8
	s_sub_i32 s10, s8, s2
	s_cmp_ge_u32 s8, s2
	s_cselect_b32 s2, s10, s8
	s_xor_b32 s2, s2, s3
	s_sub_i32 s2, s2, s3
	s_ashr_i32 s3, s2, 31
	s_waitcnt lgkmcnt(0)
	s_mul_i32 s1, s2, s1
	s_mul_hi_u32 s8, s2, s0
	s_add_i32 s1, s8, s1
	s_mul_i32 s3, s3, s0
	s_add_i32 s1, s1, s3
	s_mul_i32 s2, s2, s0
	s_add_u32 s36, s18, s2
	s_addc_u32 s37, s19, s1
.LBB5_2:
	s_load_dwordx4 s[0:3], s[4:5], 0x70
	v_bfe_u32 v7, v0, 10, 10
	v_lshrrev_b32_e32 v1, 3, v7
	v_add_u32_e32 v1, s6, v1
	v_mul_hi_u32 v2, s28, v1
	s_waitcnt lgkmcnt(0)
	s_mul_i32 s2, s33, s2
	s_ashr_i32 s8, s2, 31
	s_mul_i32 s3, s35, s1
	s_add_u32 s2, s12, s2
	v_add_u32_e32 v2, v1, v2
	s_addc_u32 s8, s13, s8
	s_ashr_i32 s10, s3, 31
	v_lshrrev_b32_e32 v2, s29, v2
	s_add_u32 s12, s2, s3
	v_mul_lo_u32 v2, v2, s30
	s_addc_u32 s8, s8, s10
	v_sub_u32_e32 v4, v1, v2
	s_ashr_i32 s10, s0, 31
	v_mov_b32_e32 v2, s0
	v_alignbit_b32 v2, s10, v2, 2
	v_mad_u64_u32 v[2:3], s[2:3], v2, v4, 0
	v_mov_b32_e32 v8, v3
	s_lshr_b32 s0, s10, 2
	v_mad_u64_u32 v[8:9], s[2:3], s0, v4, v[8:9]
	v_mov_b32_e32 v3, v8
	v_lshlrev_b64 v[2:3], 2, v[2:3]
	v_and_b32_e32 v0, 0x3ff, v0
	v_mov_b32_e32 v5, s8
	v_add_co_u32_e32 v2, vcc, s12, v2
	v_addc_co_u32_e32 v3, vcc, v5, v3, vcc
	v_lshlrev_b32_e32 v5, 4, v0
	v_lshlrev_b32_e32 v6, 1, v7
	s_ashr_i32 s11, s1, 31
	v_add_co_u32_e32 v5, vcc, v2, v5
	v_mov_b32_e32 v2, s1
	v_and_b32_e32 v17, 14, v6
	v_alignbit_b32 v2, s11, v2, 2
	v_addc_co_u32_e32 v8, vcc, 0, v3, vcc
	v_mad_u64_u32 v[2:3], s[2:3], v2, v17, 0
	v_mov_b32_e32 v10, v3
	s_lshr_b32 s0, s11, 2
	v_mad_u64_u32 v[10:11], s[2:3], s0, v17, v[10:11]
	v_mov_b32_e32 v3, v10
	v_lshlrev_b64 v[2:3], 2, v[2:3]
	v_add_co_u32_e32 v2, vcc, v5, v2
	v_addc_co_u32_e32 v3, vcc, v8, v3, vcc
	global_load_dwordx4 v[12:15], v[2:3], off
	s_load_dword s2, s[4:5], 0x40
	v_lshlrev_b32_e32 v10, 1, v0
	v_mul_u32_u24_e32 v9, 0xc0, v7
	s_mov_b32 s10, s1
	v_add_lshl_u32 v9, v9, v10, 2
	s_waitcnt lgkmcnt(0)
	s_mov_b32 s3, s2
	s_lshr_b64 s[0:1], s[10:11], 2
	v_cmp_gt_u32_e32 vcc, 16, v0
	s_waitcnt vmcnt(0)
	v_pk_mul_f32 v[12:13], v[12:13], s[2:3] op_sel_hi:[1,0]
	v_pk_mul_f32 v[14:15], v[14:15], s[2:3] op_sel_hi:[1,0]
	v_cvt_f16_f32_e32 v11, v13
	v_cvt_f16_f32_e32 v13, v15
	v_cvt_f16_f32_e32 v14, v14
	v_cvt_f16_f32_e32 v12, v12
	v_pack_b32_f16 v13, v14, v13
	v_pack_b32_f16 v12, v12, v11
	ds_write_b64 v9, v[12:13]
	s_and_saveexec_b64 s[10:11], vcc
	s_cbranch_execz .LBB5_4
; %bb.3:
	global_load_dwordx4 v[12:15], v[2:3], off offset:512
	s_waitcnt vmcnt(0)
	v_pk_mul_f32 v[2:3], v[12:13], s[2:3]
	v_pk_mul_f32 v[12:13], v[14:15], s[2:3]
	v_cvt_f16_f32_e32 v3, v3
	v_cvt_f16_f32_e32 v2, v2
	v_cvt_f16_f32_e32 v11, v13
	v_cvt_f16_f32_e32 v12, v12
	v_pack_b32_f16 v2, v2, v3
	v_pack_b32_f16 v3, v12, v11
	ds_write_b64 v9, v[2:3] offset:256
.LBB5_4:
	s_or_b64 exec, exec, s[10:11]
	v_or_b32_e32 v11, 1, v6
	v_and_b32_e32 v9, 15, v11
	v_mad_u64_u32 v[2:3], s[10:11], s0, v9, 0
	v_mov_b32_e32 v12, v3
	v_mad_u64_u32 v[12:13], s[0:1], s1, v9, v[12:13]
	v_mov_b32_e32 v3, v12
	v_lshlrev_b64 v[2:3], 2, v[2:3]
	v_add_co_u32_e64 v2, s[0:1], v5, v2
	v_addc_co_u32_e64 v3, s[0:1], v8, v3, s[0:1]
	global_load_dwordx4 v[12:15], v[2:3], off
	v_mul_u32_u24_e32 v5, 0x60, v11
	v_add_lshl_u32 v5, v5, v10, 2
	s_waitcnt vmcnt(0)
	v_pk_mul_f32 v[8:9], v[12:13], s[2:3]
	v_pk_mul_f32 v[12:13], v[14:15], s[2:3]
	v_cvt_f16_f32_e32 v14, v9
	v_cvt_f16_f32_e32 v9, v13
	;; [unrolled: 1-line block ×4, first 2 shown]
	v_pack_b32_f16 v9, v12, v9
	v_pack_b32_f16 v8, v8, v14
	ds_write_b64 v5, v[8:9]
	s_and_saveexec_b64 s[0:1], vcc
	s_cbranch_execz .LBB5_6
; %bb.5:
	global_load_dwordx4 v[12:15], v[2:3], off offset:512
	s_waitcnt vmcnt(0)
	v_pk_mul_f32 v[2:3], v[12:13], s[2:3]
	v_pk_mul_f32 v[8:9], v[14:15], s[2:3]
	v_cvt_f16_f32_e32 v3, v3
	v_cvt_f16_f32_e32 v2, v2
	;; [unrolled: 1-line block ×4, first 2 shown]
	v_pack_b32_f16 v2, v2, v3
	v_pack_b32_f16 v3, v8, v9
	ds_write_b64 v5, v[2:3] offset:256
.LBB5_6:
	s_or_b64 exec, exec, s[0:1]
	s_cmp_eq_u64 s[22:23], 0
	s_waitcnt lgkmcnt(0)
	s_barrier
	s_cbranch_scc1 .LBB5_8
; %bb.7:
	s_load_dword s0, s[4:5], 0xd0
	s_mov_b32 s1, 0
	s_waitcnt lgkmcnt(0)
	s_mul_i32 s0, s0, s33
	s_add_i32 s0, s0, s6
	s_lshl_b64 s[0:1], s[0:1], 2
	s_add_u32 s0, s22, s0
	s_addc_u32 s1, s23, s1
	s_load_dword s34, s[0:1], 0x0
.LBB5_8:
	s_lshl_b32 s22, s7, 5
	s_waitcnt lgkmcnt(0)
	s_cmp_lt_i32 s22, s34
	v_mbcnt_lo_u32_b32 v11, -1, 0
	s_cbranch_scc1 .LBB5_10
; %bb.9:
	v_mbcnt_hi_u32_b32 v21, -1, v11
	v_and_b32_e32 v2, 0x60, v21
	s_mov_b32 s0, 0xfeffffff
	s_mov_b32 s6, 0
	v_add_u32_e32 v22, 32, v2
	v_xor_b32_e32 v27, 16, v21
	v_xor_b32_e32 v26, 8, v21
	;; [unrolled: 1-line block ×5, first 2 shown]
	s_mov_b32 s1, s0
	s_mov_b64 s[2:3], 0
	s_branch .LBB5_11
.LBB5_10:
	s_mov_b64 s[2:3], -1
                                        ; implicit-def: $sgpr6
                                        ; implicit-def: $sgpr0_sgpr1
                                        ; implicit-def: $vgpr21
                                        ; implicit-def: $vgpr22
                                        ; implicit-def: $vgpr27
                                        ; implicit-def: $vgpr26
                                        ; implicit-def: $vgpr25
                                        ; implicit-def: $vgpr24
                                        ; implicit-def: $vgpr23
.LBB5_11:
	v_lshlrev_b32_e32 v16, 2, v0
	s_andn2_b64 vcc, exec, s[2:3]
	v_mov_b32_e32 v3, s6
	v_pk_mov_b32 v[8:9], s[0:1], s[0:1] op_sel:[0,1]
	v_mov_b32_e32 v20, s6
	v_mov_b32_e32 v2, s6
	;; [unrolled: 1-line block ×5, first 2 shown]
	s_cbranch_vccnz .LBB5_14
; %bb.12:
	s_sub_i32 s0, 0, s38
	s_mul_i32 s0, s0, s40
	s_mul_hi_u32 s0, s40, s0
	s_add_i32 s40, s40, s0
	s_load_dwordx2 s[10:11], s[4:5], 0x8c
	s_load_dwordx4 s[0:3], s[4:5], 0x98
	s_abs_i32 s6, s35
	s_mul_hi_u32 s8, s6, s40
	s_ashr_i32 s18, s35, 31
	s_waitcnt lgkmcnt(0)
	s_ashr_i32 s28, s10, 2
	s_ashr_i32 s23, s2, 2
	;; [unrolled: 1-line block ×4, first 2 shown]
	s_mul_i32 s1, s33, s1
	s_mul_hi_u32 s10, s33, s0
	s_add_i32 s1, s10, s1
	s_mul_i32 s10, s9, s0
	s_ashr_i32 s19, s39, 31
	s_add_i32 s1, s1, s10
	s_mul_i32 s0, s33, s0
	s_add_u32 s0, s14, s0
	s_mul_i32 s14, s8, s38
	s_addc_u32 s1, s15, s1
	s_sub_i32 s6, s6, s14
	s_xor_b32 s10, s18, s19
	s_add_i32 s14, s8, 1
	s_sub_i32 s15, s6, s38
	s_cmp_ge_u32 s6, s38
	s_cselect_b32 s8, s14, s8
	s_cselect_b32 s6, s15, s6
	s_add_i32 s14, s8, 1
	s_cmp_ge_u32 s6, s38
	s_cselect_b32 s6, s14, s8
	s_load_dwordx2 s[12:13], s[4:5], 0xa8
	s_xor_b32 s6, s6, s10
	s_sub_i32 s6, s6, s10
	s_mul_i32 s8, s6, s11
	s_ashr_i32 s10, s8, 31
	s_add_u32 s0, s0, s8
	s_addc_u32 s1, s1, s10
	s_waitcnt lgkmcnt(0)
	s_mul_i32 s8, s33, s13
	s_mul_hi_u32 s10, s33, s12
	s_add_i32 s8, s10, s8
	s_mul_i32 s9, s9, s12
	v_lshrrev_b32_e32 v2, 3, v0
	s_add_i32 s8, s8, s9
	s_mul_i32 s9, s33, s12
	v_lshl_add_u32 v2, v7, 2, v2
	s_add_u32 s9, s16, s9
	s_mul_i32 s6, s6, s3
	v_and_b32_e32 v3, 28, v16
	v_mul_u32_u24_e32 v5, 0x90, v2
	v_mul_lo_u32 v2, s28, v2
	s_addc_u32 s8, s17, s8
	s_ashr_i32 s3, s6, 31
	v_lshlrev_b32_e32 v8, 2, v3
	v_ashrrev_i32_e32 v3, 31, v2
	s_add_u32 s6, s9, s6
	s_movk_i32 s9, 0x1800
	v_lshlrev_b64 v[2:3], 2, v[2:3]
	v_add3_u32 v28, v5, v8, s9
	v_mov_b32_e32 v5, s1
	v_add_co_u32_e32 v2, vcc, s0, v2
	v_addc_co_u32_e32 v3, vcc, v5, v3, vcc
	v_add_co_u32_e32 v29, vcc, v2, v8
	v_mov_b32_e32 v2, 0x2a00
	v_addc_co_u32_e32 v30, vcc, 0, v3, vcc
	v_mad_u64_u32 v[4:5], s[0:1], v4, s2, v[0:1]
	v_lshl_add_u32 v33, v7, 7, v2
	v_lshrrev_b32_e32 v2, 4, v0
	v_and_b32_e32 v3, 60, v16
	v_add_u32_e32 v2, v6, v2
	v_lshlrev_b32_e32 v5, 2, v3
	v_lshl_or_b32 v3, v2, 8, v5
	v_mul_lo_u32 v2, s23, v2
	v_add_u32_e32 v35, 0x1800, v3
	v_ashrrev_i32_e32 v3, 31, v2
	s_addc_u32 s3, s8, s3
	v_lshlrev_b64 v[2:3], 2, v[2:3]
	v_mov_b32_e32 v6, s3
	v_add_co_u32_e32 v2, vcc, s6, v2
	v_addc_co_u32_e32 v3, vcc, v6, v3, vcc
	v_mov_b32_e32 v8, 0x1800
	v_add_co_u32_e32 v36, vcc, v2, v5
	v_mbcnt_hi_u32_b32 v21, -1, v11
	s_movk_i32 s8, 0x90
	v_addc_co_u32_e32 v37, vcc, 0, v3, vcc
	v_lshl_add_u32 v38, v10, 2, v8
	s_add_u32 s18, s4, 0xd0
	v_mov_b32_e32 v6, 0xfeffffff
	v_mov_b32_e32 v2, 0
	v_and_b32_e32 v3, 0x60, v21
	v_mad_u32_u24 v31, v0, s8, v8
	v_mul_u32_u24_e32 v32, 0x300, v7
	v_lshl_add_u32 v34, v10, 1, v33
	s_addc_u32 s19, s5, 0
	v_mov_b32_e32 v18, 0
	v_mov_b32_e32 v39, s37
	v_add_u32_e32 v22, 32, v3
	v_xor_b32_e32 v27, 16, v21
	v_xor_b32_e32 v26, 8, v21
	;; [unrolled: 1-line block ×5, first 2 shown]
	s_mov_b32 s6, 0x40051340
	s_mov_b32 s29, 0x3fb8aa3b
	;; [unrolled: 1-line block ×4, first 2 shown]
	v_mov_b32_e32 v40, 0x7f800000
	v_add_u32_e32 v41, 0x800, v38
	v_mov_b32_e32 v5, 0
	v_mov_b32_e32 v19, 0
	;; [unrolled: 1-line block ×5, first 2 shown]
.LBB5_13:                               ; =>This Inner Loop Header: Depth=1
	s_mul_hi_i32 s13, s22, s28
	s_mul_i32 s12, s22, s28
	v_cmp_lt_i32_e64 s[0:1], v26, v22
	v_cndmask_b32_e64 v13, v21, v26, s[0:1]
	s_lshl_b64 s[0:1], s[12:13], 2
	v_cmp_lt_i32_e64 s[8:9], v23, v22
	v_lshlrev_b32_e32 v59, 2, v13
	v_mov_b32_e32 v13, s1
	v_add_co_u32_e64 v56, s[0:1], s0, v29
	v_cndmask_b32_e64 v44, v21, v23, s[8:9]
	v_addc_co_u32_e64 v57, s[0:1], v30, v13, s[0:1]
	v_lshlrev_b32_e32 v62, 2, v44
	global_load_dwordx4 v[44:47], v[56:57], off
	v_cmp_lt_i32_e32 vcc, v27, v22
	v_cmp_lt_i32_e64 s[2:3], v25, v22
	v_cmp_lt_i32_e64 s[10:11], v24, v22
	s_mul_hi_i32 s15, s22, s23
	s_mul_i32 s14, s22, s23
	v_add_u32_e32 v10, s22, v4
	s_or_b32 s16, s22, 16
	v_cndmask_b32_e32 v12, v21, v27, vcc
	v_cndmask_b32_e64 v14, v21, v25, s[2:3]
	v_cndmask_b32_e64 v15, v21, v24, s[10:11]
	s_lshl_b64 s[2:3], s[14:15], 2
	v_ashrrev_i32_e32 v11, 31, v10
	s_mul_hi_i32 s9, s16, s23
	s_mul_i32 s8, s16, s23
	v_lshlrev_b32_e32 v58, 2, v12
	v_lshlrev_b32_e32 v61, 2, v15
	v_mov_b32_e32 v15, s3
	v_add_co_u32_e32 v12, vcc, s2, v36
	v_lshlrev_b64 v[10:11], 1, v[10:11]
	s_lshl_b64 s[2:3], s[8:9], 2
	v_addc_co_u32_e32 v13, vcc, v37, v15, vcc
	v_lshlrev_b32_e32 v60, 2, v14
	v_add_co_u32_e64 v14, s[0:1], s36, v10
	v_mov_b32_e32 v48, s3
	v_add_co_u32_e32 v10, vcc, s2, v36
	v_addc_co_u32_e64 v15, s[0:1], v39, v11, s[0:1]
	v_addc_co_u32_e32 v11, vcc, v37, v48, vcc
	v_mov_b32_e32 v8, 0
	v_mov_b32_e32 v9, 0
	v_max_f32_e32 v42, v7, v7
	v_max_f32_e32 v43, v6, v6
	s_waitcnt vmcnt(0)
	ds_write_b128 v28, v[44:47]
	s_waitcnt lgkmcnt(0)
	s_barrier
	ds_read_b128 v[44:47], v31
	ds_read_b128 v[48:51], v32
	ds_read_b128 v[52:55], v32 offset:384
	s_waitcnt lgkmcnt(1)
	;;#ASMSTART
	v_dot2_f32_f16 v8, v44, v48, v8
	;;#ASMEND
	;;#ASMSTART
	v_dot2_f32_f16 v8, v45, v49, v8
	;;#ASMEND
	;;#ASMSTART
	v_dot2_f32_f16 v8, v46, v50, v8
	;;#ASMEND
	;;#ASMSTART
	v_dot2_f32_f16 v8, v47, v51, v8
	;;#ASMEND
	s_waitcnt lgkmcnt(0)
	;;#ASMSTART
	v_dot2_f32_f16 v9, v44, v52, v9
	;;#ASMEND
	;;#ASMSTART
	v_dot2_f32_f16 v9, v45, v53, v9
	;;#ASMEND
	;;#ASMSTART
	v_dot2_f32_f16 v9, v46, v54, v9
	;;#ASMEND
	;;#ASMSTART
	v_dot2_f32_f16 v9, v47, v55, v9
	;;#ASMEND
	ds_read_b128 v[44:47], v31 offset:16
	ds_read_b128 v[48:51], v32 offset:16
	ds_read_b128 v[52:55], v32 offset:400
	s_waitcnt lgkmcnt(1)
	;;#ASMSTART
	v_dot2_f32_f16 v8, v44, v48, v8
	;;#ASMEND
	;;#ASMSTART
	v_dot2_f32_f16 v8, v45, v49, v8
	;;#ASMEND
	;;#ASMSTART
	v_dot2_f32_f16 v8, v46, v50, v8
	;;#ASMEND
	;;#ASMSTART
	v_dot2_f32_f16 v8, v47, v51, v8
	;;#ASMEND
	s_waitcnt lgkmcnt(0)
	;;#ASMSTART
	v_dot2_f32_f16 v9, v44, v52, v9
	;;#ASMEND
	;;#ASMSTART
	v_dot2_f32_f16 v9, v45, v53, v9
	;;#ASMEND
	;;#ASMSTART
	v_dot2_f32_f16 v9, v46, v54, v9
	;;#ASMEND
	;;#ASMSTART
	v_dot2_f32_f16 v9, v47, v55, v9
	;;#ASMEND
	ds_read_b128 v[44:47], v31 offset:32
	ds_read_b128 v[48:51], v32 offset:32
	;; [unrolled: 29-line block ×7, first 2 shown]
	ds_read_b128 v[52:55], v32 offset:496
	s_waitcnt lgkmcnt(1)
	;;#ASMSTART
	v_dot2_f32_f16 v8, v44, v48, v8
	;;#ASMEND
	;;#ASMSTART
	v_dot2_f32_f16 v8, v45, v49, v8
	;;#ASMEND
	;; [unrolled: 3-line block ×4, first 2 shown]
	s_waitcnt lgkmcnt(0)
	;;#ASMSTART
	v_dot2_f32_f16 v9, v44, v52, v9
	;;#ASMEND
	;;#ASMSTART
	v_dot2_f32_f16 v9, v45, v53, v9
	;;#ASMEND
	;; [unrolled: 3-line block ×4, first 2 shown]
	s_barrier
	global_load_dwordx4 v[44:47], v[56:57], off offset:128
	s_waitcnt vmcnt(0)
	ds_write_b128 v28, v[44:47]
	s_waitcnt lgkmcnt(0)
	s_barrier
	ds_read_b128 v[44:47], v31
	ds_read_b128 v[48:51], v32 offset:128
	ds_read_b128 v[52:55], v32 offset:512
	s_waitcnt lgkmcnt(1)
	;;#ASMSTART
	v_dot2_f32_f16 v8, v44, v48, v8
	;;#ASMEND
	;;#ASMSTART
	v_dot2_f32_f16 v8, v45, v49, v8
	;;#ASMEND
	;;#ASMSTART
	v_dot2_f32_f16 v8, v46, v50, v8
	;;#ASMEND
	;;#ASMSTART
	v_dot2_f32_f16 v8, v47, v51, v8
	;;#ASMEND
	s_waitcnt lgkmcnt(0)
	;;#ASMSTART
	v_dot2_f32_f16 v9, v44, v52, v9
	;;#ASMEND
	;;#ASMSTART
	v_dot2_f32_f16 v9, v45, v53, v9
	;;#ASMEND
	;;#ASMSTART
	v_dot2_f32_f16 v9, v46, v54, v9
	;;#ASMEND
	;;#ASMSTART
	v_dot2_f32_f16 v9, v47, v55, v9
	;;#ASMEND
	ds_read_b128 v[44:47], v31 offset:16
	ds_read_b128 v[48:51], v32 offset:144
	ds_read_b128 v[52:55], v32 offset:528
	s_waitcnt lgkmcnt(1)
	;;#ASMSTART
	v_dot2_f32_f16 v8, v44, v48, v8
	;;#ASMEND
	;;#ASMSTART
	v_dot2_f32_f16 v8, v45, v49, v8
	;;#ASMEND
	;;#ASMSTART
	v_dot2_f32_f16 v8, v46, v50, v8
	;;#ASMEND
	;;#ASMSTART
	v_dot2_f32_f16 v8, v47, v51, v8
	;;#ASMEND
	s_waitcnt lgkmcnt(0)
	;;#ASMSTART
	v_dot2_f32_f16 v9, v44, v52, v9
	;;#ASMEND
	;;#ASMSTART
	v_dot2_f32_f16 v9, v45, v53, v9
	;;#ASMEND
	;;#ASMSTART
	v_dot2_f32_f16 v9, v46, v54, v9
	;;#ASMEND
	;;#ASMSTART
	v_dot2_f32_f16 v9, v47, v55, v9
	;;#ASMEND
	ds_read_b128 v[44:47], v31 offset:32
	;; [unrolled: 29-line block ×7, first 2 shown]
	ds_read_b128 v[48:51], v32 offset:240
	ds_read_b128 v[52:55], v32 offset:624
	s_waitcnt lgkmcnt(1)
	;;#ASMSTART
	v_dot2_f32_f16 v8, v44, v48, v8
	;;#ASMEND
	;;#ASMSTART
	v_dot2_f32_f16 v8, v45, v49, v8
	;;#ASMEND
	;; [unrolled: 3-line block ×4, first 2 shown]
	s_waitcnt lgkmcnt(0)
	;;#ASMSTART
	v_dot2_f32_f16 v9, v44, v52, v9
	;;#ASMEND
	;;#ASMSTART
	v_dot2_f32_f16 v9, v45, v53, v9
	;;#ASMEND
	;; [unrolled: 3-line block ×4, first 2 shown]
	s_barrier
	global_load_dwordx4 v[44:47], v[56:57], off offset:256
	s_waitcnt vmcnt(0)
	ds_write_b128 v28, v[44:47]
	s_waitcnt lgkmcnt(0)
	s_barrier
	ds_read_b128 v[44:47], v31
	ds_read_b128 v[48:51], v32 offset:256
	ds_read_b128 v[52:55], v32 offset:640
	s_waitcnt lgkmcnt(1)
	;;#ASMSTART
	v_dot2_f32_f16 v8, v44, v48, v8
	;;#ASMEND
	;;#ASMSTART
	v_dot2_f32_f16 v8, v45, v49, v8
	;;#ASMEND
	;;#ASMSTART
	v_dot2_f32_f16 v8, v46, v50, v8
	;;#ASMEND
	;;#ASMSTART
	v_dot2_f32_f16 v8, v47, v51, v8
	;;#ASMEND
	s_waitcnt lgkmcnt(0)
	;;#ASMSTART
	v_dot2_f32_f16 v9, v44, v52, v9
	;;#ASMEND
	;;#ASMSTART
	v_dot2_f32_f16 v9, v45, v53, v9
	;;#ASMEND
	;;#ASMSTART
	v_dot2_f32_f16 v9, v46, v54, v9
	;;#ASMEND
	;;#ASMSTART
	v_dot2_f32_f16 v9, v47, v55, v9
	;;#ASMEND
	ds_read_b128 v[44:47], v31 offset:16
	ds_read_b128 v[48:51], v32 offset:272
	ds_read_b128 v[52:55], v32 offset:656
	s_waitcnt lgkmcnt(1)
	;;#ASMSTART
	v_dot2_f32_f16 v8, v44, v48, v8
	;;#ASMEND
	;;#ASMSTART
	v_dot2_f32_f16 v8, v45, v49, v8
	;;#ASMEND
	;;#ASMSTART
	v_dot2_f32_f16 v8, v46, v50, v8
	;;#ASMEND
	;;#ASMSTART
	v_dot2_f32_f16 v8, v47, v51, v8
	;;#ASMEND
	s_waitcnt lgkmcnt(0)
	;;#ASMSTART
	v_dot2_f32_f16 v9, v44, v52, v9
	;;#ASMEND
	;;#ASMSTART
	v_dot2_f32_f16 v9, v45, v53, v9
	;;#ASMEND
	;;#ASMSTART
	v_dot2_f32_f16 v9, v46, v54, v9
	;;#ASMEND
	;;#ASMSTART
	v_dot2_f32_f16 v9, v47, v55, v9
	;;#ASMEND
	ds_read_b128 v[44:47], v31 offset:32
	;; [unrolled: 29-line block ×7, first 2 shown]
	ds_read_b128 v[48:51], v32 offset:368
	ds_read_b128 v[52:55], v32 offset:752
	s_waitcnt lgkmcnt(1)
	;;#ASMSTART
	v_dot2_f32_f16 v8, v44, v48, v8
	;;#ASMEND
	;;#ASMSTART
	v_dot2_f32_f16 v8, v45, v49, v8
	;;#ASMEND
	;; [unrolled: 3-line block ×4, first 2 shown]
	s_waitcnt lgkmcnt(0)
	;;#ASMSTART
	v_dot2_f32_f16 v9, v44, v52, v9
	;;#ASMEND
	;;#ASMSTART
	v_dot2_f32_f16 v9, v45, v53, v9
	;;#ASMEND
	;; [unrolled: 3-line block ×4, first 2 shown]
	flat_load_ushort v44, v[14:15]
	s_waitcnt lgkmcnt(0)
	s_barrier
	global_load_dwordx4 v[12:15], v[12:13], off
	s_waitcnt vmcnt(0)
	v_cvt_f32_f16_e32 v44, v44
	v_pk_add_f32 v[44:45], v[8:9], v[44:45] op_sel_hi:[1,0]
	v_pk_add_f32 v[8:9], v[44:45], s[6:7] op_sel_hi:[1,0]
	v_max_f32_e32 v9, v42, v9
	v_max_f32_e32 v8, v43, v8
	ds_bpermute_b32 v42, v58, v9
	ds_bpermute_b32 v43, v58, v8
	s_waitcnt lgkmcnt(1)
	v_max_f32_e32 v42, v42, v42
	s_waitcnt lgkmcnt(0)
	v_max_f32_e32 v43, v43, v43
	v_max_f32_e32 v9, v9, v42
	v_max_f32_e32 v8, v8, v43
	ds_bpermute_b32 v42, v59, v9
	ds_bpermute_b32 v43, v59, v8
	s_waitcnt lgkmcnt(1)
	v_max_f32_e32 v42, v42, v42
	s_waitcnt lgkmcnt(0)
	v_max_f32_e32 v43, v43, v43
	;; [unrolled: 8-line block ×5, first 2 shown]
	v_max_f32_e32 v9, v9, v42
	v_max_f32_e32 v8, v8, v43
	v_pk_add_f32 v[42:43], v[44:45], v[8:9] neg_lo:[0,1] neg_hi:[0,1]
	v_mul_f32_e32 v46, 0x3fb8aa3b, v43
	v_mul_f32_e32 v47, 0x3fb8aa3b, v42
	v_fma_f32 v50, v43, s29, -v46
	v_rndne_f32_e32 v51, v46
	v_fma_f32 v52, v42, s29, -v47
	v_rndne_f32_e32 v53, v47
	v_pk_add_f32 v[44:45], v[6:7], v[8:9] neg_lo:[0,1] neg_hi:[0,1]
	v_cmp_ngt_f32_e32 vcc, s37, v42
	v_cmp_ngt_f32_e64 s[8:9], s37, v43
	v_cmp_nlt_f32_e64 s[10:11], s38, v42
	v_cmp_nlt_f32_e64 s[16:17], s38, v43
	v_fmac_f32_e32 v50, 0x32a5705f, v43
	v_sub_f32_e32 v43, v46, v51
	v_fmac_f32_e32 v52, 0x32a5705f, v42
	v_sub_f32_e32 v42, v47, v53
	v_mul_f32_e32 v49, 0x3fb8aa3b, v44
	v_add_f32_e32 v43, v43, v50
	v_add_f32_e32 v42, v42, v52
	v_mul_f32_e32 v48, 0x3fb8aa3b, v45
	v_fma_f32 v56, v44, s29, -v49
	v_rndne_f32_e32 v57, v49
	v_cvt_i32_f32_e32 v46, v51
	v_cvt_i32_f32_e32 v47, v53
	v_exp_f32_e32 v43, v43
	v_exp_f32_e32 v42, v42
	v_cmp_ngt_f32_e64 s[2:3], s37, v44
	v_cmp_nlt_f32_e64 s[14:15], s38, v44
	v_fma_f32 v54, v45, s29, -v48
	v_rndne_f32_e32 v55, v48
	v_fmac_f32_e32 v56, 0x32a5705f, v44
	v_sub_f32_e32 v44, v49, v57
	v_cmp_ngt_f32_e64 s[0:1], s37, v45
	v_cmp_nlt_f32_e64 s[12:13], s38, v45
	v_fmac_f32_e32 v54, 0x32a5705f, v45
	v_sub_f32_e32 v45, v48, v55
	v_add_f32_e32 v44, v44, v56
	v_cvt_i32_f32_e32 v49, v57
	v_add_f32_e32 v45, v45, v54
	v_exp_f32_e32 v44, v44
	v_cvt_i32_f32_e32 v48, v55
	v_exp_f32_e32 v45, v45
	v_ldexp_f32 v43, v43, v46
	v_ldexp_f32 v42, v42, v47
	v_cndmask_b32_e64 v43, 0, v43, s[8:9]
	v_cndmask_b32_e32 v42, 0, v42, vcc
	v_cndmask_b32_e64 v43, v40, v43, s[16:17]
	v_cndmask_b32_e64 v42, v40, v42, s[10:11]
	v_ldexp_f32 v44, v44, v49
	v_cvt_f16_f32_e32 v46, v43
	v_cvt_f16_f32_e32 v47, v42
	v_ldexp_f32 v45, v45, v48
	v_cndmask_b32_e64 v44, 0, v44, s[2:3]
	v_cndmask_b32_e64 v45, 0, v45, s[0:1]
	;; [unrolled: 1-line block ×4, first 2 shown]
	v_cvt_f16_f32_e32 v86, v44
	v_cvt_f16_f32_e32 v82, v45
	v_pk_fma_f32 v[2:3], v[2:3], v[44:45], v[42:43]
	v_pack_b32_f16 v42, v47, v46
	ds_write_b32 v34, v42
	ds_write_b128 v35, v[12:15]
	s_waitcnt lgkmcnt(0)
	s_barrier
	ds_read2_b64 v[12:15], v38 offset1:32
	ds_read_b128 v[42:45], v33
	ds_read_b128 v[46:49], v33 offset:16
	ds_read_b128 v[50:53], v33 offset:32
	;; [unrolled: 1-line block ×3, first 2 shown]
	ds_read2_b64 v[58:61], v38 offset0:64 offset1:96
	ds_read2_b64 v[62:65], v38 offset0:128 offset1:160
	;; [unrolled: 1-line block ×3, first 2 shown]
	ds_read2_b64 v[70:73], v41 offset1:32
	ds_read2_b64 v[74:77], v41 offset0:64 offset1:96
	ds_read2_b64 v[78:81], v41 offset0:128 offset1:160
	s_waitcnt lgkmcnt(9)
	v_pk_mul_f16 v83, v12, v42 op_sel:[0,1]
	v_pk_mul_f16 v12, v12, v42 op_sel_hi:[1,0]
	v_pk_fma_f16 v12, v86, v20, v12 op_sel_hi:[0,1,1]
	v_pk_mul_f16 v20, v13, v42 op_sel_hi:[1,0]
	v_pk_mul_f16 v18, v82, v18 op_sel_hi:[0,1]
	v_pk_fma_f16 v5, v82, v5, v83 op_sel_hi:[0,1,1]
	ds_read2_b64 v[82:85], v41 offset0:192 offset1:224
	s_waitcnt lgkmcnt(0)
	s_barrier
	v_pk_fma_f16 v19, v86, v19, v20 op_sel_hi:[0,1,1]
	global_load_dwordx4 v[86:89], v[10:11], off
	v_pk_fma_f16 v10, v13, v42, v18 op_sel:[0,1,0]
	v_pk_fma_f16 v10, v15, v43, v10 op_sel:[0,1,0]
	v_pk_fma_f16 v11, v14, v43, v12 op_sel_hi:[1,0,1]
	v_pk_fma_f16 v5, v14, v43, v5 op_sel:[0,1,0]
	v_pk_fma_f16 v12, v15, v43, v19 op_sel_hi:[1,0,1]
	;; [unrolled: 2-line block ×30, first 2 shown]
	v_mov_b32_e32 v6, v8
	v_mov_b32_e32 v7, v9
	s_waitcnt vmcnt(0)
	ds_write_b128 v35, v[86:89]
	s_waitcnt lgkmcnt(0)
	s_barrier
	ds_read2_b64 v[10:13], v38 offset1:32
	ds_read_b128 v[42:45], v33 offset:64
	ds_read_b128 v[46:49], v33 offset:80
	;; [unrolled: 1-line block ×4, first 2 shown]
	ds_read2_b64 v[58:61], v38 offset0:64 offset1:96
	ds_read2_b64 v[62:65], v38 offset0:128 offset1:160
	;; [unrolled: 1-line block ×3, first 2 shown]
	ds_read2_b64 v[70:73], v41 offset1:32
	ds_read2_b64 v[74:77], v41 offset0:64 offset1:96
	ds_read2_b64 v[78:81], v41 offset0:128 offset1:160
	;; [unrolled: 1-line block ×3, first 2 shown]
	s_waitcnt lgkmcnt(10)
	v_pk_fma_f16 v15, v10, v42, v15 op_sel_hi:[1,0,1]
	v_pk_fma_f16 v5, v10, v42, v5 op_sel:[0,1,0]
	v_pk_fma_f16 v10, v11, v42, v18 op_sel_hi:[1,0,1]
	v_pk_fma_f16 v11, v11, v42, v14 op_sel:[0,1,0]
	v_pk_fma_f16 v14, v12, v43, v15 op_sel_hi:[1,0,1]
	v_pk_fma_f16 v5, v12, v43, v5 op_sel:[0,1,0]
	v_pk_fma_f16 v10, v13, v43, v10 op_sel_hi:[1,0,1]
	v_pk_fma_f16 v11, v13, v43, v11 op_sel:[0,1,0]
	s_waitcnt lgkmcnt(6)
	v_pk_fma_f16 v12, v58, v44, v14 op_sel_hi:[1,0,1]
	v_pk_fma_f16 v5, v58, v44, v5 op_sel:[0,1,0]
	v_pk_fma_f16 v10, v59, v44, v10 op_sel_hi:[1,0,1]
	v_pk_fma_f16 v11, v59, v44, v11 op_sel:[0,1,0]
	v_pk_fma_f16 v12, v60, v45, v12 op_sel_hi:[1,0,1]
	v_pk_fma_f16 v5, v60, v45, v5 op_sel:[0,1,0]
	v_pk_fma_f16 v10, v61, v45, v10 op_sel_hi:[1,0,1]
	v_pk_fma_f16 v11, v61, v45, v11 op_sel:[0,1,0]
	;; [unrolled: 9-line block ×4, first 2 shown]
	s_waitcnt lgkmcnt(0)
	s_barrier
	s_load_dword s0, s[18:19], 0x4
	v_pk_fma_f16 v12, v70, v50, v12 op_sel_hi:[1,0,1]
	v_pk_fma_f16 v5, v70, v50, v5 op_sel:[0,1,0]
	v_pk_fma_f16 v10, v71, v50, v10 op_sel_hi:[1,0,1]
	v_pk_fma_f16 v11, v71, v50, v11 op_sel:[0,1,0]
	;; [unrolled: 2-line block ×10, first 2 shown]
	s_waitcnt lgkmcnt(0)
	s_lshl_b32 s0, s0, 5
	v_pk_fma_f16 v12, v80, v55, v12 op_sel_hi:[1,0,1]
	v_pk_fma_f16 v5, v80, v55, v5 op_sel:[0,1,0]
	v_pk_fma_f16 v10, v81, v55, v10 op_sel_hi:[1,0,1]
	v_pk_fma_f16 v11, v81, v55, v11 op_sel:[0,1,0]
	s_add_i32 s22, s0, s22
	v_pk_fma_f16 v12, v82, v56, v12 op_sel_hi:[1,0,1]
	v_pk_fma_f16 v5, v82, v56, v5 op_sel:[0,1,0]
	v_pk_fma_f16 v10, v83, v56, v10 op_sel_hi:[1,0,1]
	v_pk_fma_f16 v11, v83, v56, v11 op_sel:[0,1,0]
	s_cmp_ge_i32 s22, s34
	v_pk_fma_f16 v20, v84, v57, v12 op_sel_hi:[1,0,1]
	v_pk_fma_f16 v5, v84, v57, v5 op_sel:[0,1,0]
	v_pk_fma_f16 v19, v85, v57, v10 op_sel_hi:[1,0,1]
	v_pk_fma_f16 v18, v85, v57, v11 op_sel:[0,1,0]
	s_cbranch_scc0 .LBB5_13
.LBB5_14:
	v_cmp_lt_i32_e32 vcc, v27, v22
	v_cndmask_b32_e32 v4, v21, v27, vcc
	v_lshlrev_b32_e32 v4, 2, v4
	ds_bpermute_b32 v6, v4, v2
	ds_bpermute_b32 v7, v4, v3
	v_cmp_lt_i32_e32 vcc, v26, v22
	v_cndmask_b32_e32 v4, v21, v26, vcc
	v_lshlrev_b32_e32 v4, 2, v4
	v_cmp_lt_i32_e32 vcc, v25, v22
	s_waitcnt lgkmcnt(0)
	v_pk_add_f32 v[2:3], v[2:3], v[6:7]
	ds_bpermute_b32 v6, v4, v2
	ds_bpermute_b32 v7, v4, v3
	v_cndmask_b32_e32 v4, v21, v25, vcc
	v_lshlrev_b32_e32 v4, 2, v4
	v_cmp_lt_i32_e32 vcc, v24, v22
	s_cmp_lg_u64 s[20:21], 0
	s_waitcnt lgkmcnt(0)
	v_pk_add_f32 v[2:3], v[2:3], v[6:7]
	ds_bpermute_b32 v6, v4, v2
	ds_bpermute_b32 v7, v4, v3
	v_cndmask_b32_e32 v4, v21, v24, vcc
	v_lshlrev_b32_e32 v4, 2, v4
	v_cmp_lt_i32_e32 vcc, v23, v22
	s_cselect_b64 s[2:3], -1, 0
	s_waitcnt lgkmcnt(0)
	v_pk_add_f32 v[2:3], v[2:3], v[6:7]
	ds_bpermute_b32 v6, v4, v2
	ds_bpermute_b32 v7, v4, v3
	v_cndmask_b32_e32 v4, v21, v23, vcc
	v_lshlrev_b32_e32 v4, 2, v4
	s_cmp_eq_u32 s7, 0
	s_cselect_b64 s[8:9], -1, 0
	s_waitcnt lgkmcnt(0)
	v_pk_add_f32 v[2:3], v[2:3], v[6:7]
	ds_bpermute_b32 v6, v4, v2
	ds_bpermute_b32 v7, v4, v3
	s_and_b64 s[2:3], s[8:9], s[2:3]
	s_mov_b64 s[0:1], 0
	s_and_b64 vcc, exec, s[2:3]
	s_waitcnt lgkmcnt(0)
	v_pk_add_f32 v[2:3], v[2:3], v[6:7]
	v_add_u32_e32 v6, s35, v17
	s_cbranch_vccnz .LBB5_16
; %bb.15:
	v_add_u32_e32 v4, s35, v17
	s_andn2_b64 vcc, exec, s[0:1]
	s_cbranch_vccz .LBB5_17
	s_branch .LBB5_18
.LBB5_16:
                                        ; implicit-def: $vgpr4
.LBB5_17:
	v_ashrrev_i32_e32 v7, 31, v6
	v_lshlrev_b64 v[10:11], 2, v[6:7]
	v_mov_b32_e32 v4, s21
	v_add_co_u32_e32 v10, vcc, s20, v10
	v_addc_co_u32_e32 v11, vcc, v4, v11, vcc
	global_load_dwordx2 v[10:11], v[10:11], off
	v_max_f32_e32 v7, v9, v9
	v_max_f32_e32 v12, v8, v8
	v_mov_b32_e32 v4, v6
	s_mov_b32 s0, 0x3fb8aa3b
	s_mov_b32 s1, 0xc2ce8ed0
	;; [unrolled: 1-line block ×3, first 2 shown]
	v_mov_b32_e32 v13, 0x7f800000
	s_waitcnt vmcnt(0)
	v_max_f32_e32 v6, v11, v11
	v_max_f32_e32 v14, v10, v10
	;; [unrolled: 1-line block ×4, first 2 shown]
	v_pk_add_f32 v[8:9], v[8:9], v[6:7] neg_lo:[0,1] neg_hi:[0,1]
	v_mul_f32_e32 v12, 0x3fb8aa3b, v9
	v_pk_add_f32 v[10:11], v[10:11], v[6:7] neg_lo:[0,1] neg_hi:[0,1]
	v_mul_f32_e32 v14, 0x3fb8aa3b, v8
	v_fma_f32 v21, v9, s0, -v12
	v_rndne_f32_e32 v22, v12
	v_mul_f32_e32 v15, 0x3fb8aa3b, v11
	v_fma_f32 v23, v8, s0, -v14
	v_rndne_f32_e32 v24, v14
	v_fmac_f32_e32 v21, 0x32a5705f, v9
	v_sub_f32_e32 v12, v12, v22
	v_mul_f32_e32 v17, 0x3fb8aa3b, v10
	v_fma_f32 v25, v11, s0, -v15
	v_rndne_f32_e32 v26, v15
	v_fmac_f32_e32 v23, 0x32a5705f, v8
	v_sub_f32_e32 v14, v14, v24
	v_add_f32_e32 v12, v12, v21
	v_fma_f32 v27, v10, s0, -v17
	v_rndne_f32_e32 v28, v17
	v_cvt_i32_f32_e32 v22, v22
	v_fmac_f32_e32 v25, 0x32a5705f, v11
	v_sub_f32_e32 v15, v15, v26
	v_add_f32_e32 v14, v14, v23
	v_exp_f32_e32 v12, v12
	v_cvt_i32_f32_e32 v24, v24
	v_fmac_f32_e32 v27, 0x32a5705f, v10
	v_sub_f32_e32 v17, v17, v28
	v_add_f32_e32 v15, v15, v25
	v_exp_f32_e32 v14, v14
	v_cvt_i32_f32_e32 v26, v26
	v_add_f32_e32 v17, v17, v27
	v_exp_f32_e32 v15, v15
	v_cvt_i32_f32_e32 v28, v28
	v_exp_f32_e32 v17, v17
	v_ldexp_f32 v12, v12, v22
	v_cmp_ngt_f32_e32 vcc, s1, v9
	v_ldexp_f32 v14, v14, v24
	v_cndmask_b32_e32 v12, 0, v12, vcc
	v_cmp_ngt_f32_e32 vcc, s1, v8
	v_ldexp_f32 v15, v15, v26
	v_cndmask_b32_e32 v14, 0, v14, vcc
	;; [unrolled: 3-line block ×3, first 2 shown]
	v_cmp_ngt_f32_e32 vcc, s1, v10
	v_cndmask_b32_e32 v17, 0, v17, vcc
	v_cmp_nlt_f32_e32 vcc, s2, v9
	v_cndmask_b32_e32 v9, v13, v12, vcc
	v_cmp_nlt_f32_e32 vcc, s2, v8
	;; [unrolled: 2-line block ×4, first 2 shown]
	v_cvt_f16_f32_e32 v12, v8
	v_cndmask_b32_e32 v10, v13, v17, vcc
	v_cvt_f16_f32_e32 v13, v9
	v_pk_fma_f32 v[2:3], v[2:3], v[8:9], v[10:11]
	v_pk_mul_f16 v20, v12, v20 op_sel_hi:[0,1]
	v_pk_mul_f16 v19, v12, v19 op_sel_hi:[0,1]
	;; [unrolled: 1-line block ×4, first 2 shown]
	v_pk_mov_b32 v[8:9], v[6:7], v[6:7] op_sel:[0,1]
.LBB5_18:
	s_load_dword s6, s[4:5], 0xd4
	v_mov_b32_e32 v6, 1.0
	s_waitcnt lgkmcnt(0)
	s_cmp_lg_u32 s6, 1
	s_cselect_b64 s[0:1], -1, 0
	s_cmp_eq_u32 s6, 1
	s_cselect_b64 s[2:3], -1, 0
	s_and_b64 vcc, exec, s[0:1]
	s_cbranch_vccnz .LBB5_20
; %bb.19:
	v_div_scale_f32 v6, s[4:5], v2, v2, 1.0
	v_rcp_f32_e32 v7, v6
	v_div_scale_f32 v10, vcc, 1.0, v2, 1.0
	v_fma_f32 v11, -v6, v7, 1.0
	v_fmac_f32_e32 v7, v11, v7
	v_mul_f32_e32 v11, v10, v7
	v_fma_f32 v12, -v6, v11, v10
	v_fmac_f32_e32 v11, v12, v7
	v_fma_f32 v6, -v6, v11, v10
	v_div_fmas_f32 v6, v6, v7, v11
	v_div_fixup_f32 v6, v6, v2, 1.0
.LBB5_20:
	s_mul_i32 s33, s33, s30
	v_add_u32_e32 v1, s33, v1
	v_mad_u64_u32 v[10:11], s[4:5], v1, s31, v[4:5]
	v_cmp_eq_u32_e32 vcc, 0, v0
	v_mul_lo_u32 v0, s6, v10
	v_add_u32_e32 v0, s7, v0
	v_cvt_f32_f16_sdwa v13, v20 dst_sel:DWORD dst_unused:UNUSED_PAD src0_sel:WORD_1
	v_cvt_f32_f16_e32 v12, v20
	v_cvt_f32_f16_sdwa v15, v19 dst_sel:DWORD dst_unused:UNUSED_PAD src0_sel:WORD_1
	v_cvt_f32_f16_e32 v14, v19
	v_lshl_add_u32 v10, v0, 7, v16
	v_mov_b32_e32 v11, 0
	v_lshlrev_b64 v[10:11], 2, v[10:11]
	s_and_b64 s[0:1], vcc, s[0:1]
	v_mov_b32_e32 v1, s25
	v_add_co_u32_e32 v20, vcc, s24, v10
	v_addc_co_u32_e32 v21, vcc, v1, v11, vcc
	v_pk_mul_f32 v[10:11], v[6:7], v[12:13] op_sel_hi:[0,1]
	v_pk_mul_f32 v[12:13], v[6:7], v[14:15] op_sel_hi:[0,1]
	global_store_dwordx4 v[20:21], v[10:13], off
	s_and_saveexec_b64 s[4:5], s[0:1]
	s_cbranch_execz .LBB5_22
; %bb.21:
	v_ashrrev_i32_e32 v1, 31, v0
	v_lshlrev_b64 v[6:7], 3, v[0:1]
	v_mov_b32_e32 v1, s27
	v_add_co_u32_e32 v6, vcc, s26, v6
	v_addc_co_u32_e32 v7, vcc, v1, v7, vcc
	v_mov_b32_e32 v10, v8
	v_mov_b32_e32 v11, v2
	global_store_dwordx2 v[6:7], v[10:11], off
.LBB5_22:
	s_or_b64 exec, exec, s[4:5]
	s_andn2_b64 vcc, exec, s[2:3]
	v_mov_b32_e32 v2, 1.0
	s_cbranch_vccnz .LBB5_24
; %bb.23:
	v_div_scale_f32 v1, s[2:3], v3, v3, 1.0
	v_rcp_f32_e32 v2, v1
	v_div_scale_f32 v4, vcc, 1.0, v3, 1.0
	v_fma_f32 v6, -v1, v2, 1.0
	v_fmac_f32_e32 v2, v6, v2
	v_mul_f32_e32 v6, v4, v2
	v_fma_f32 v7, -v1, v6, v4
	v_fmac_f32_e32 v6, v7, v2
	v_fma_f32 v1, -v1, v6, v4
	v_div_fmas_f32 v1, v1, v2, v6
	v_div_fixup_f32 v2, v1, v3, 1.0
.LBB5_24:
	v_add_u32_e32 v0, s6, v0
	v_cvt_f32_f16_sdwa v11, v5 dst_sel:DWORD dst_unused:UNUSED_PAD src0_sel:WORD_1
	v_cvt_f32_f16_e32 v10, v5
	v_cvt_f32_f16_sdwa v13, v18 dst_sel:DWORD dst_unused:UNUSED_PAD src0_sel:WORD_1
	v_cvt_f32_f16_e32 v12, v18
	v_lshl_add_u32 v6, v0, 7, v16
	v_mov_b32_e32 v7, 0
	v_lshlrev_b64 v[6:7], 2, v[6:7]
	v_mov_b32_e32 v1, s25
	v_add_co_u32_e32 v14, vcc, s24, v6
	v_addc_co_u32_e32 v15, vcc, v1, v7, vcc
	v_pk_mul_f32 v[4:5], v[2:3], v[10:11] op_sel_hi:[0,1]
	v_pk_mul_f32 v[6:7], v[2:3], v[12:13] op_sel_hi:[0,1]
	global_store_dwordx4 v[14:15], v[4:7], off
	s_and_saveexec_b64 s[2:3], s[0:1]
	s_cbranch_execz .LBB5_26
; %bb.25:
	v_ashrrev_i32_e32 v1, 31, v0
	v_lshlrev_b64 v[0:1], 3, v[0:1]
	v_mov_b32_e32 v2, s27
	v_add_co_u32_e32 v0, vcc, s26, v0
	v_addc_co_u32_e32 v1, vcc, v2, v1, vcc
	v_mov_b32_e32 v2, v9
	global_store_dwordx2 v[0:1], v[2:3], off
.LBB5_26:
	s_endpgm
	.section	.rodata,"a",@progbits
	.p2align	6, 0x0
	.amdhsa_kernel _ZL15flash_attn_tileILi192ELi128ELi1ELi16ELb0EEvPKcS1_S1_S1_S1_PKiPfP15HIP_vector_typeIfLj2EEffffjfiS5_IjLj3EEiiiiiiiiiiiliiliiiiil
		.amdhsa_group_segment_fixed_size 11776
		.amdhsa_private_segment_fixed_size 0
		.amdhsa_kernarg_size 464
		.amdhsa_user_sgpr_count 6
		.amdhsa_user_sgpr_private_segment_buffer 1
		.amdhsa_user_sgpr_dispatch_ptr 0
		.amdhsa_user_sgpr_queue_ptr 0
		.amdhsa_user_sgpr_kernarg_segment_ptr 1
		.amdhsa_user_sgpr_dispatch_id 0
		.amdhsa_user_sgpr_flat_scratch_init 0
		.amdhsa_user_sgpr_kernarg_preload_length 0
		.amdhsa_user_sgpr_kernarg_preload_offset 0
		.amdhsa_user_sgpr_private_segment_size 0
		.amdhsa_uses_dynamic_stack 0
		.amdhsa_system_sgpr_private_segment_wavefront_offset 0
		.amdhsa_system_sgpr_workgroup_id_x 1
		.amdhsa_system_sgpr_workgroup_id_y 1
		.amdhsa_system_sgpr_workgroup_id_z 1
		.amdhsa_system_sgpr_workgroup_info 0
		.amdhsa_system_vgpr_workitem_id 1
		.amdhsa_next_free_vgpr 90
		.amdhsa_next_free_sgpr 41
		.amdhsa_accum_offset 92
		.amdhsa_reserve_vcc 1
		.amdhsa_reserve_flat_scratch 0
		.amdhsa_float_round_mode_32 0
		.amdhsa_float_round_mode_16_64 0
		.amdhsa_float_denorm_mode_32 3
		.amdhsa_float_denorm_mode_16_64 3
		.amdhsa_dx10_clamp 1
		.amdhsa_ieee_mode 1
		.amdhsa_fp16_overflow 0
		.amdhsa_tg_split 0
		.amdhsa_exception_fp_ieee_invalid_op 0
		.amdhsa_exception_fp_denorm_src 0
		.amdhsa_exception_fp_ieee_div_zero 0
		.amdhsa_exception_fp_ieee_overflow 0
		.amdhsa_exception_fp_ieee_underflow 0
		.amdhsa_exception_fp_ieee_inexact 0
		.amdhsa_exception_int_div_zero 0
	.end_amdhsa_kernel
	.section	.text._ZL15flash_attn_tileILi192ELi128ELi1ELi16ELb0EEvPKcS1_S1_S1_S1_PKiPfP15HIP_vector_typeIfLj2EEffffjfiS5_IjLj3EEiiiiiiiiiiiliiliiiiil,"axG",@progbits,_ZL15flash_attn_tileILi192ELi128ELi1ELi16ELb0EEvPKcS1_S1_S1_S1_PKiPfP15HIP_vector_typeIfLj2EEffffjfiS5_IjLj3EEiiiiiiiiiiiliiliiiiil,comdat
.Lfunc_end5:
	.size	_ZL15flash_attn_tileILi192ELi128ELi1ELi16ELb0EEvPKcS1_S1_S1_S1_PKiPfP15HIP_vector_typeIfLj2EEffffjfiS5_IjLj3EEiiiiiiiiiiiliiliiiiil, .Lfunc_end5-_ZL15flash_attn_tileILi192ELi128ELi1ELi16ELb0EEvPKcS1_S1_S1_S1_PKiPfP15HIP_vector_typeIfLj2EEffffjfiS5_IjLj3EEiiiiiiiiiiiliiliiiiil
                                        ; -- End function
	.section	.AMDGPU.csdata,"",@progbits
; Kernel info:
; codeLenInByte = 7696
; NumSgprs: 45
; NumVgprs: 90
; NumAgprs: 0
; TotalNumVgprs: 90
; ScratchSize: 0
; MemoryBound: 0
; FloatMode: 240
; IeeeMode: 1
; LDSByteSize: 11776 bytes/workgroup (compile time only)
; SGPRBlocks: 5
; VGPRBlocks: 11
; NumSGPRsForWavesPerEU: 45
; NumVGPRsForWavesPerEU: 90
; AccumOffset: 92
; Occupancy: 5
; WaveLimiterHint : 1
; COMPUTE_PGM_RSRC2:SCRATCH_EN: 0
; COMPUTE_PGM_RSRC2:USER_SGPR: 6
; COMPUTE_PGM_RSRC2:TRAP_HANDLER: 0
; COMPUTE_PGM_RSRC2:TGID_X_EN: 1
; COMPUTE_PGM_RSRC2:TGID_Y_EN: 1
; COMPUTE_PGM_RSRC2:TGID_Z_EN: 1
; COMPUTE_PGM_RSRC2:TIDIG_COMP_CNT: 1
; COMPUTE_PGM_RSRC3_GFX90A:ACCUM_OFFSET: 22
; COMPUTE_PGM_RSRC3_GFX90A:TG_SPLIT: 0
	.section	.text._ZL25flash_attn_mask_to_KV_maxILi1EEvPK7__half2Piiii,"axG",@progbits,_ZL25flash_attn_mask_to_KV_maxILi1EEvPK7__half2Piiii,comdat
	.globl	_ZL25flash_attn_mask_to_KV_maxILi1EEvPK7__half2Piiii ; -- Begin function _ZL25flash_attn_mask_to_KV_maxILi1EEvPK7__half2Piiii
	.p2align	8
	.type	_ZL25flash_attn_mask_to_KV_maxILi1EEvPK7__half2Piiii,@function
_ZL25flash_attn_mask_to_KV_maxILi1EEvPK7__half2Piiii: ; @_ZL25flash_attn_mask_to_KV_maxILi1EEvPK7__half2Piiii
; %bb.0:
	s_load_dwordx4 s[8:11], s[4:5], 0x0
	v_cmp_gt_u32_e32 vcc, 32, v0
	s_and_saveexec_b64 s[0:1], vcc
	s_cbranch_execz .LBB6_2
; %bb.1:
	v_lshlrev_b32_e32 v1, 2, v0
	v_mov_b32_e32 v2, 1
	ds_write_b32 v1, v2
.LBB6_2:
	s_or_b64 exec, exec, s[0:1]
	s_load_dwordx4 s[0:3], s[4:5], 0x10
	s_load_dword s12, s[4:5], 0x20
	v_and_b32_e32 v2, 31, v0
	v_cmp_eq_u32_e32 vcc, 0, v2
	v_lshlrev_b32_e32 v4, 2, v2
	s_waitcnt lgkmcnt(0)
	s_mul_i32 s2, s7, s2
	s_mul_i32 s1, s6, s1
	s_add_i32 s2, s2, s1
	s_ashr_i32 s3, s2, 31
	v_mbcnt_lo_u32_b32 v2, -1, 0
	s_lshl_b64 s[2:3], s[2:3], 2
	v_mbcnt_hi_u32_b32 v5, -1, v2
	s_add_u32 s13, s8, s2
	v_and_b32_e32 v2, 0x60, v5
	s_addc_u32 s14, s9, s3
	s_lshl_b32 s15, s0, 8
	v_lshrrev_b32_e32 v1, 3, v0
	s_mov_b64 s[4:5], 0
	v_mov_b32_e32 v3, 0
	s_movk_i32 s16, 0x204
	s_movk_i32 s17, 0x7fff
	s_movk_i32 s18, 0x7c00
	v_add_u32_e32 v6, 32, v2
	v_xor_b32_e32 v7, 16, v5
	v_xor_b32_e32 v8, 8, v5
	;; [unrolled: 1-line block ×5, first 2 shown]
	s_barrier
	s_waitcnt lgkmcnt(0)
                                        ; implicit-def: $sgpr0_sgpr1
	s_branch .LBB6_5
.LBB6_3:                                ;   in Loop: Header=BB6_5 Depth=1
	s_or_b64 exec, exec, s[2:3]
	s_waitcnt lgkmcnt(0)
	s_barrier
	ds_read_b32 v16, v4
	s_waitcnt lgkmcnt(0)
	s_barrier
	ds_bpermute_b32 v2, v2, v16
	v_cmp_ne_u32_e64 s[0:1], 0, v16
	s_waitcnt lgkmcnt(0)
	v_cmp_ne_u32_e64 s[2:3], 0, v2
	s_and_b64 s[2:3], s[0:1], s[2:3]
	v_cndmask_b32_e64 v2, 0, 1, s[2:3]
	ds_bpermute_b32 v2, v12, v2
	s_waitcnt lgkmcnt(0)
	v_cmp_ne_u32_e64 s[0:1], 0, v2
	s_and_b64 s[2:3], s[0:1], s[2:3]
	v_cndmask_b32_e64 v2, 0, 1, s[2:3]
	ds_bpermute_b32 v2, v13, v2
	;; [unrolled: 5-line block ×4, first 2 shown]
	s_xor_b64 s[2:3], s[0:1], -1
	s_waitcnt lgkmcnt(0)
	v_cmp_eq_u32_e64 s[0:1], 0, v2
	s_or_b64 s[0:1], s[0:1], s[2:3]
.LBB6_4:                                ;   in Loop: Header=BB6_5 Depth=1
	s_and_b64 s[2:3], exec, s[0:1]
	s_or_b64 s[4:5], s[2:3], s[4:5]
	v_mov_b32_e32 v2, s15
	s_mov_b32 s15, s19
	s_andn2_b64 exec, exec, s[4:5]
	s_cbranch_execz .LBB6_8
.LBB6_5:                                ; =>This Inner Loop Header: Depth=1
	s_add_i32 s19, s15, 0xffffff00
	s_or_b64 s[0:1], s[0:1], exec
	s_cmp_lt_i32 s19, 0
	s_cbranch_scc1 .LBB6_4
; %bb.6:                                ;   in Loop: Header=BB6_5 Depth=1
	s_lshr_b32 s0, s19, 1
	v_add_u32_e32 v2, s0, v0
	v_lshlrev_b64 v[12:13], 2, v[2:3]
	v_mov_b32_e32 v2, s14
	v_add_co_u32_e64 v12, s[0:1], s13, v12
	v_addc_co_u32_e64 v13, s[0:1], v2, v13, s[0:1]
	global_load_dword v12, v[12:13], off
	v_cmp_lt_i32_e64 s[0:1], v7, v6
	v_cndmask_b32_e64 v2, v5, v7, s[0:1]
	v_lshlrev_b32_e32 v2, 2, v2
	s_waitcnt vmcnt(0)
	v_cmp_class_f16_e64 s[2:3], v12, s16
	v_and_b32_sdwa v12, s17, v12 dst_sel:DWORD dst_unused:UNUSED_PAD src0_sel:DWORD src1_sel:WORD_1
	v_cmp_eq_f16_e64 s[0:1], s18, v12
	s_and_b64 s[2:3], s[2:3], s[0:1]
	v_cndmask_b32_e64 v12, 0, 1, s[2:3]
	ds_bpermute_b32 v13, v2, v12
	v_cmp_lt_i32_e64 s[0:1], v8, v6
	v_cndmask_b32_e64 v12, v5, v8, s[0:1]
	v_lshlrev_b32_e32 v12, 2, v12
	s_waitcnt lgkmcnt(0)
	v_cmp_ne_u32_e64 s[0:1], 0, v13
	s_and_b64 s[2:3], s[2:3], s[0:1]
	v_cndmask_b32_e64 v13, 0, 1, s[2:3]
	ds_bpermute_b32 v14, v12, v13
	v_cmp_lt_i32_e64 s[0:1], v9, v6
	v_cndmask_b32_e64 v13, v5, v9, s[0:1]
	v_lshlrev_b32_e32 v13, 2, v13
	s_waitcnt lgkmcnt(0)
	v_cmp_ne_u32_e64 s[0:1], 0, v14
	;; [unrolled: 8-line block ×3, first 2 shown]
	s_and_b64 s[2:3], s[0:1], s[2:3]
	v_cndmask_b32_e64 v15, 0, 1, s[2:3]
	ds_bpermute_b32 v15, v14, v15
	v_cmp_lt_i32_e64 s[0:1], v11, v6
	v_cndmask_b32_e64 v16, v5, v11, s[0:1]
	s_waitcnt lgkmcnt(0)
	v_cmp_ne_u32_e64 s[0:1], 0, v15
	s_and_b64 s[8:9], s[0:1], s[2:3]
	v_cndmask_b32_e64 v17, 0, 1, s[8:9]
	v_lshlrev_b32_e32 v15, 2, v16
	ds_bpermute_b32 v16, v15, v17
	s_and_saveexec_b64 s[2:3], vcc
	s_cbranch_execz .LBB6_3
; %bb.7:                                ;   in Loop: Header=BB6_5 Depth=1
	s_waitcnt lgkmcnt(0)
	v_cmp_ne_u32_e64 s[0:1], 0, v16
	s_and_b64 s[0:1], s[0:1], s[8:9]
	v_cndmask_b32_e64 v16, 0, 1, s[0:1]
	ds_write_b32 v1, v16
	s_branch .LBB6_3
.LBB6_8:
	s_or_b64 exec, exec, s[4:5]
	v_cmp_eq_u32_e32 vcc, 0, v0
	s_and_saveexec_b64 s[0:1], vcc
	s_cbranch_execz .LBB6_10
; %bb.9:
	s_mul_i32 s0, s12, s7
	s_add_i32 s0, s0, s6
	s_ashr_i32 s1, s0, 31
	s_lshl_b64 s[0:1], s[0:1], 2
	s_add_u32 s0, s10, s0
	s_addc_u32 s1, s11, s1
	v_mov_b32_e32 v0, 0
	global_store_dword v0, v2, s[0:1]
.LBB6_10:
	s_endpgm
	.section	.rodata,"a",@progbits
	.p2align	6, 0x0
	.amdhsa_kernel _ZL25flash_attn_mask_to_KV_maxILi1EEvPK7__half2Piiii
		.amdhsa_group_segment_fixed_size 128
		.amdhsa_private_segment_fixed_size 0
		.amdhsa_kernarg_size 288
		.amdhsa_user_sgpr_count 6
		.amdhsa_user_sgpr_private_segment_buffer 1
		.amdhsa_user_sgpr_dispatch_ptr 0
		.amdhsa_user_sgpr_queue_ptr 0
		.amdhsa_user_sgpr_kernarg_segment_ptr 1
		.amdhsa_user_sgpr_dispatch_id 0
		.amdhsa_user_sgpr_flat_scratch_init 0
		.amdhsa_user_sgpr_kernarg_preload_length 0
		.amdhsa_user_sgpr_kernarg_preload_offset 0
		.amdhsa_user_sgpr_private_segment_size 0
		.amdhsa_uses_dynamic_stack 0
		.amdhsa_system_sgpr_private_segment_wavefront_offset 0
		.amdhsa_system_sgpr_workgroup_id_x 1
		.amdhsa_system_sgpr_workgroup_id_y 1
		.amdhsa_system_sgpr_workgroup_id_z 0
		.amdhsa_system_sgpr_workgroup_info 0
		.amdhsa_system_vgpr_workitem_id 0
		.amdhsa_next_free_vgpr 18
		.amdhsa_next_free_sgpr 20
		.amdhsa_accum_offset 20
		.amdhsa_reserve_vcc 1
		.amdhsa_reserve_flat_scratch 0
		.amdhsa_float_round_mode_32 0
		.amdhsa_float_round_mode_16_64 0
		.amdhsa_float_denorm_mode_32 3
		.amdhsa_float_denorm_mode_16_64 3
		.amdhsa_dx10_clamp 1
		.amdhsa_ieee_mode 1
		.amdhsa_fp16_overflow 0
		.amdhsa_tg_split 0
		.amdhsa_exception_fp_ieee_invalid_op 0
		.amdhsa_exception_fp_denorm_src 0
		.amdhsa_exception_fp_ieee_div_zero 0
		.amdhsa_exception_fp_ieee_overflow 0
		.amdhsa_exception_fp_ieee_underflow 0
		.amdhsa_exception_fp_ieee_inexact 0
		.amdhsa_exception_int_div_zero 0
	.end_amdhsa_kernel
	.section	.text._ZL25flash_attn_mask_to_KV_maxILi1EEvPK7__half2Piiii,"axG",@progbits,_ZL25flash_attn_mask_to_KV_maxILi1EEvPK7__half2Piiii,comdat
.Lfunc_end6:
	.size	_ZL25flash_attn_mask_to_KV_maxILi1EEvPK7__half2Piiii, .Lfunc_end6-_ZL25flash_attn_mask_to_KV_maxILi1EEvPK7__half2Piiii
                                        ; -- End function
	.section	.AMDGPU.csdata,"",@progbits
; Kernel info:
; codeLenInByte = 844
; NumSgprs: 24
; NumVgprs: 18
; NumAgprs: 0
; TotalNumVgprs: 18
; ScratchSize: 0
; MemoryBound: 0
; FloatMode: 240
; IeeeMode: 1
; LDSByteSize: 128 bytes/workgroup (compile time only)
; SGPRBlocks: 2
; VGPRBlocks: 2
; NumSGPRsForWavesPerEU: 24
; NumVGPRsForWavesPerEU: 18
; AccumOffset: 20
; Occupancy: 8
; WaveLimiterHint : 0
; COMPUTE_PGM_RSRC2:SCRATCH_EN: 0
; COMPUTE_PGM_RSRC2:USER_SGPR: 6
; COMPUTE_PGM_RSRC2:TRAP_HANDLER: 0
; COMPUTE_PGM_RSRC2:TGID_X_EN: 1
; COMPUTE_PGM_RSRC2:TGID_Y_EN: 1
; COMPUTE_PGM_RSRC2:TGID_Z_EN: 0
; COMPUTE_PGM_RSRC2:TIDIG_COMP_CNT: 0
; COMPUTE_PGM_RSRC3_GFX90A:ACCUM_OFFSET: 4
; COMPUTE_PGM_RSRC3_GFX90A:TG_SPLIT: 0
	.section	.text._ZL33flash_attn_stream_k_fixup_uniformILi128ELi1ELi16EEvPfPK15HIP_vector_typeIfLj2EEiiiiiiS1_IjLj3EES5_S5_,"axG",@progbits,_ZL33flash_attn_stream_k_fixup_uniformILi128ELi1ELi16EEvPfPK15HIP_vector_typeIfLj2EEiiiiiiS1_IjLj3EES5_S5_,comdat
	.globl	_ZL33flash_attn_stream_k_fixup_uniformILi128ELi1ELi16EEvPfPK15HIP_vector_typeIfLj2EEiiiiiiS1_IjLj3EES5_S5_ ; -- Begin function _ZL33flash_attn_stream_k_fixup_uniformILi128ELi1ELi16EEvPfPK15HIP_vector_typeIfLj2EEiiiiiiS1_IjLj3EES5_S5_
	.p2align	8
	.type	_ZL33flash_attn_stream_k_fixup_uniformILi128ELi1ELi16EEvPfPK15HIP_vector_typeIfLj2EEiiiiiiS1_IjLj3EES5_S5_,@function
_ZL33flash_attn_stream_k_fixup_uniformILi128ELi1ELi16EEvPfPK15HIP_vector_typeIfLj2EEiiiiiiS1_IjLj3EES5_S5_: ; @_ZL33flash_attn_stream_k_fixup_uniformILi128ELi1ELi16EEvPfPK15HIP_vector_typeIfLj2EEiiiiiiS1_IjLj3EES5_S5_
; %bb.0:
	s_load_dwordx8 s[12:19], s[4:5], 0x1c
	s_load_dwordx2 s[10:11], s[4:5], 0x10
	s_load_dwordx4 s[0:3], s[4:5], 0x3c
	s_waitcnt lgkmcnt(0)
	s_mul_hi_u32 s9, s15, s6
	s_add_i32 s9, s6, s9
	s_lshr_b32 s9, s9, s16
	s_mul_i32 s15, s9, s17
	s_sub_i32 s16, s6, s15
	s_mul_hi_u32 s15, s16, s18
	s_add_i32 s15, s16, s15
	s_lshr_b32 s15, s15, s19
	s_mul_i32 s0, s15, s0
	s_sub_i32 s0, s16, s0
	s_mul_hi_u32 s1, s0, s1
	s_add_i32 s1, s0, s1
	s_lshr_b32 s1, s1, s2
	s_mul_i32 s2, s1, s3
	s_sub_i32 s16, s0, s2
	s_lshl_b32 s17, s1, 4
	s_add_i32 s16, s16, s7
	s_cmp_lt_i32 s16, s10
	s_cselect_b64 s[0:1], -1, 0
	s_add_i32 s17, s17, s8
	s_cmp_lt_i32 s17, s13
	s_cselect_b64 s[2:3], -1, 0
	s_and_b64 s[0:1], s[0:1], s[2:3]
	s_andn2_b64 vcc, exec, s[0:1]
	s_cbranch_vccnz .LBB7_6
; %bb.1:
	s_mul_i32 s9, s9, s10
	s_load_dwordx4 s[0:3], s[4:5], 0x0
	s_mul_i32 s15, s15, s13
	s_add_i32 s4, s16, s9
	s_mul_i32 s4, s4, s11
	s_add_i32 s5, s17, s15
	s_add_i32 s5, s5, s4
	v_lshl_or_b32 v2, s5, 7, v0
	v_ashrrev_i32_e32 v3, 31, v2
	v_lshlrev_b64 v[2:3], 2, v[2:3]
	s_waitcnt lgkmcnt(0)
	v_mov_b32_e32 v1, s1
	v_add_co_u32_e32 v2, vcc, s0, v2
	v_addc_co_u32_e32 v3, vcc, v1, v3, vcc
	global_load_dword v8, v[2:3], off
	s_mul_i32 s9, s6, s14
	s_add_i32 s4, s9, s14
	s_add_i32 s0, s7, s4
	s_lshl_b32 s0, s0, 4
	s_add_i32 s0, s0, s8
	s_add_i32 s0, s0, -16
	s_ashr_i32 s1, s0, 31
	s_lshl_b64 s[0:1], s[0:1], 3
	s_add_u32 s0, s2, s0
	s_addc_u32 s1, s3, s1
	s_load_dword s5, s[0:1], 0x4
	s_add_i32 s10, s4, -2
	s_cmp_lt_i32 s10, s9
	s_cbranch_scc1 .LBB7_4
; %bb.2:
	s_lshl_b32 s10, s12, 6
	s_ashr_i32 s11, s10, 31
	s_lshl_b64 s[10:11], s[10:11], 2
	s_add_u32 s10, s2, s10
	s_addc_u32 s13, s3, s11
	s_load_dword s0, s[0:1], 0x0
	s_add_i32 s6, s6, 1
	s_lshl_b32 s1, s8, 7
	s_add_i32 s12, s7, s12
	s_mul_i32 s6, s14, s6
	s_lshl_b32 s7, s7, 11
	s_add_i32 s12, s12, s4
	s_lshl_b32 s6, s6, 11
	s_add_i32 s1, s1, s7
	s_add_i32 s11, s4, -1
	s_lshl_b32 s4, s12, 4
	s_add_i32 s1, s1, s6
	s_add_i32 s8, s8, s4
	v_or_b32_e32 v0, s1, v0
	s_sub_i32 s4, s8, 32
	v_add_u32_e32 v0, 0xfffff000, v0
	s_waitcnt lgkmcnt(0)
	v_mov_b32_e32 v7, s5
	v_mov_b32_e32 v6, s0
	;; [unrolled: 1-line block ×3, first 2 shown]
	s_mov_b32 s6, 0x3fb8aa3b
	s_mov_b32 s7, 0xc2ce8ed0
	s_mov_b32 s8, 0x42b17218
	v_mov_b32_e32 v5, 0x7f800000
	s_mov_b32 s12, 0xc1a00000
.LBB7_3:                                ; =>This Inner Loop Header: Depth=1
	v_ashrrev_i32_e32 v1, 31, v0
	v_lshlrev_b64 v[10:11], 2, v[0:1]
	v_add_co_u32_e32 v10, vcc, s10, v10
	v_addc_co_u32_e32 v11, vcc, v4, v11, vcc
	global_load_dword v1, v[10:11], off
	s_ashr_i32 s5, s4, 31
	s_lshl_b64 s[0:1], s[4:5], 3
	s_add_u32 s0, s2, s0
	s_addc_u32 s1, s3, s1
	s_load_dwordx2 s[14:15], s[0:1], 0x0
	s_waitcnt vmcnt(1)
	v_mov_b32_e32 v9, v8
	v_max_f32_e32 v8, v6, v6
	v_mov_b32_e32 v10, v7
	s_add_i32 s11, s11, -1
	s_waitcnt lgkmcnt(0)
	v_max_f32_e64 v7, s14, s14
	v_max_f32_e32 v7, v8, v7
	v_sub_f32_e32 v11, s14, v7
	v_sub_f32_e32 v8, v6, v7
	v_mul_f32_e32 v12, 0x3fb8aa3b, v11
	v_mov_b32_e32 v6, v7
	v_mul_f32_e32 v7, 0x3fb8aa3b, v8
	v_fma_f32 v15, v11, s6, -v12
	v_rndne_f32_e32 v16, v12
	v_fma_f32 v13, v8, s6, -v7
	v_rndne_f32_e32 v14, v7
	v_fmac_f32_e32 v15, 0x32a5705f, v11
	v_sub_f32_e32 v12, v12, v16
	v_fmac_f32_e32 v13, 0x32a5705f, v8
	v_sub_f32_e32 v7, v7, v14
	v_add_f32_e32 v12, v12, v15
	v_cvt_i32_f32_e32 v16, v16
	v_add_f32_e32 v7, v7, v13
	v_exp_f32_e32 v12, v12
	v_cvt_i32_f32_e32 v14, v14
	v_exp_f32_e32 v7, v7
	v_cmp_ngt_f32_e32 vcc, s7, v11
	v_ldexp_f32 v12, v12, v16
	v_cmp_ngt_f32_e64 s[0:1], s7, v8
	v_ldexp_f32 v7, v7, v14
	v_cndmask_b32_e32 v12, 0, v12, vcc
	v_cmp_nlt_f32_e32 vcc, s8, v11
	v_cndmask_b32_e64 v7, 0, v7, s[0:1]
	v_cmp_nlt_f32_e64 s[0:1], s8, v8
	v_cndmask_b32_e32 v12, v5, v12, vcc
	v_cmp_le_f32_e32 vcc, s12, v11
	v_cndmask_b32_e64 v7, v5, v7, s[0:1]
	v_cmp_le_f32_e64 s[0:1], s12, v8
	v_cndmask_b32_e32 v8, 0, v12, vcc
	s_add_i32 s4, s4, -16
	v_cndmask_b32_e64 v11, 0, v7, s[0:1]
	v_mul_f32_e32 v7, s15, v8
	v_add_u32_e32 v0, 0xfffff800, v0
	s_cmp_le_i32 s11, s9
	v_fmac_f32_e32 v7, v10, v11
	s_waitcnt vmcnt(0)
	v_mul_f32_e32 v8, v1, v8
	v_fmac_f32_e32 v8, v9, v11
	s_cbranch_scc0 .LBB7_3
	s_branch .LBB7_5
.LBB7_4:
	s_waitcnt lgkmcnt(0)
	v_mov_b32_e32 v7, s5
.LBB7_5:
	s_waitcnt vmcnt(0)
	v_div_scale_f32 v0, s[0:1], v7, v7, v8
	v_rcp_f32_e32 v1, v0
	v_div_scale_f32 v4, vcc, v8, v7, v8
	v_fma_f32 v5, -v0, v1, 1.0
	v_fmac_f32_e32 v1, v5, v1
	v_mul_f32_e32 v5, v4, v1
	v_fma_f32 v6, -v0, v5, v4
	v_fmac_f32_e32 v5, v6, v1
	v_fma_f32 v0, -v0, v5, v4
	v_div_fmas_f32 v0, v0, v1, v5
	v_div_fixup_f32 v0, v0, v7, v8
	global_store_dword v[2:3], v0, off
.LBB7_6:
	s_endpgm
	.section	.rodata,"a",@progbits
	.p2align	6, 0x0
	.amdhsa_kernel _ZL33flash_attn_stream_k_fixup_uniformILi128ELi1ELi16EEvPfPK15HIP_vector_typeIfLj2EEiiiiiiS1_IjLj3EES5_S5_
		.amdhsa_group_segment_fixed_size 0
		.amdhsa_private_segment_fixed_size 0
		.amdhsa_kernarg_size 76
		.amdhsa_user_sgpr_count 6
		.amdhsa_user_sgpr_private_segment_buffer 1
		.amdhsa_user_sgpr_dispatch_ptr 0
		.amdhsa_user_sgpr_queue_ptr 0
		.amdhsa_user_sgpr_kernarg_segment_ptr 1
		.amdhsa_user_sgpr_dispatch_id 0
		.amdhsa_user_sgpr_flat_scratch_init 0
		.amdhsa_user_sgpr_kernarg_preload_length 0
		.amdhsa_user_sgpr_kernarg_preload_offset 0
		.amdhsa_user_sgpr_private_segment_size 0
		.amdhsa_uses_dynamic_stack 0
		.amdhsa_system_sgpr_private_segment_wavefront_offset 0
		.amdhsa_system_sgpr_workgroup_id_x 1
		.amdhsa_system_sgpr_workgroup_id_y 1
		.amdhsa_system_sgpr_workgroup_id_z 1
		.amdhsa_system_sgpr_workgroup_info 0
		.amdhsa_system_vgpr_workitem_id 0
		.amdhsa_next_free_vgpr 17
		.amdhsa_next_free_sgpr 20
		.amdhsa_accum_offset 20
		.amdhsa_reserve_vcc 1
		.amdhsa_reserve_flat_scratch 0
		.amdhsa_float_round_mode_32 0
		.amdhsa_float_round_mode_16_64 0
		.amdhsa_float_denorm_mode_32 3
		.amdhsa_float_denorm_mode_16_64 3
		.amdhsa_dx10_clamp 1
		.amdhsa_ieee_mode 1
		.amdhsa_fp16_overflow 0
		.amdhsa_tg_split 0
		.amdhsa_exception_fp_ieee_invalid_op 0
		.amdhsa_exception_fp_denorm_src 0
		.amdhsa_exception_fp_ieee_div_zero 0
		.amdhsa_exception_fp_ieee_overflow 0
		.amdhsa_exception_fp_ieee_underflow 0
		.amdhsa_exception_fp_ieee_inexact 0
		.amdhsa_exception_int_div_zero 0
	.end_amdhsa_kernel
	.section	.text._ZL33flash_attn_stream_k_fixup_uniformILi128ELi1ELi16EEvPfPK15HIP_vector_typeIfLj2EEiiiiiiS1_IjLj3EES5_S5_,"axG",@progbits,_ZL33flash_attn_stream_k_fixup_uniformILi128ELi1ELi16EEvPfPK15HIP_vector_typeIfLj2EEiiiiiiS1_IjLj3EES5_S5_,comdat
.Lfunc_end7:
	.size	_ZL33flash_attn_stream_k_fixup_uniformILi128ELi1ELi16EEvPfPK15HIP_vector_typeIfLj2EEiiiiiiS1_IjLj3EES5_S5_, .Lfunc_end7-_ZL33flash_attn_stream_k_fixup_uniformILi128ELi1ELi16EEvPfPK15HIP_vector_typeIfLj2EEiiiiiiS1_IjLj3EES5_S5_
                                        ; -- End function
	.section	.AMDGPU.csdata,"",@progbits
; Kernel info:
; codeLenInByte = 828
; NumSgprs: 24
; NumVgprs: 17
; NumAgprs: 0
; TotalNumVgprs: 17
; ScratchSize: 0
; MemoryBound: 0
; FloatMode: 240
; IeeeMode: 1
; LDSByteSize: 0 bytes/workgroup (compile time only)
; SGPRBlocks: 2
; VGPRBlocks: 2
; NumSGPRsForWavesPerEU: 24
; NumVGPRsForWavesPerEU: 17
; AccumOffset: 20
; Occupancy: 8
; WaveLimiterHint : 0
; COMPUTE_PGM_RSRC2:SCRATCH_EN: 0
; COMPUTE_PGM_RSRC2:USER_SGPR: 6
; COMPUTE_PGM_RSRC2:TRAP_HANDLER: 0
; COMPUTE_PGM_RSRC2:TGID_X_EN: 1
; COMPUTE_PGM_RSRC2:TGID_Y_EN: 1
; COMPUTE_PGM_RSRC2:TGID_Z_EN: 1
; COMPUTE_PGM_RSRC2:TIDIG_COMP_CNT: 0
; COMPUTE_PGM_RSRC3_GFX90A:ACCUM_OFFSET: 4
; COMPUTE_PGM_RSRC3_GFX90A:TG_SPLIT: 0
	.section	.text._ZL33flash_attn_stream_k_fixup_generalILi128ELi1ELi16EEvPfPK15HIP_vector_typeIfLj2EEiiiiS1_IjLj3EES5_S5_S5_,"axG",@progbits,_ZL33flash_attn_stream_k_fixup_generalILi128ELi1ELi16EEvPfPK15HIP_vector_typeIfLj2EEiiiiS1_IjLj3EES5_S5_S5_,comdat
	.globl	_ZL33flash_attn_stream_k_fixup_generalILi128ELi1ELi16EEvPfPK15HIP_vector_typeIfLj2EEiiiiS1_IjLj3EES5_S5_S5_ ; -- Begin function _ZL33flash_attn_stream_k_fixup_generalILi128ELi1ELi16EEvPfPK15HIP_vector_typeIfLj2EEiiiiS1_IjLj3EES5_S5_S5_
	.p2align	8
	.type	_ZL33flash_attn_stream_k_fixup_generalILi128ELi1ELi16EEvPfPK15HIP_vector_typeIfLj2EEiiiiS1_IjLj3EES5_S5_S5_,@function
_ZL33flash_attn_stream_k_fixup_generalILi128ELi1ELi16EEvPfPK15HIP_vector_typeIfLj2EEiiiiS1_IjLj3EES5_S5_S5_: ; @_ZL33flash_attn_stream_k_fixup_generalILi128ELi1ELi16EEvPfPK15HIP_vector_typeIfLj2EEiiiiS1_IjLj3EES5_S5_S5_
; %bb.0:
	s_load_dwordx4 s[12:15], s[4:5], 0x10
	s_load_dword s9, s[4:5], 0x50
	s_mov_b32 s2, 0
	s_waitcnt lgkmcnt(0)
	s_mul_hi_i32 s3, s15, s6
	s_cmp_lg_u64 s[2:3], 0
	s_mul_i32 s2, s15, s6
	s_cbranch_scc0 .LBB8_21
; %bb.1:
	v_cvt_f32_u32_e32 v1, s9
	v_cvt_f32_ubyte0_e32 v2, 0
	s_sub_u32 s10, 0, s9
	s_subb_u32 s11, 0, 0
	v_madmk_f32 v1, v2, 0x4f800000, v1
	v_rcp_f32_e32 v1, v1
	v_mul_f32_e32 v1, 0x5f7ffffc, v1
	v_mul_f32_e32 v2, 0x2f800000, v1
	v_trunc_f32_e32 v2, v2
	v_madmk_f32 v1, v2, 0xcf800000, v1
	v_cvt_u32_f32_e32 v2, v2
	v_cvt_u32_f32_e32 v1, v1
	v_readfirstlane_b32 s16, v2
	v_readfirstlane_b32 s17, v1
	s_mul_i32 s18, s10, s16
	s_mul_hi_u32 s20, s10, s17
	s_mul_i32 s19, s11, s17
	s_add_i32 s18, s20, s18
	s_add_i32 s18, s18, s19
	s_mul_i32 s21, s10, s17
	s_mul_hi_u32 s19, s17, s18
	s_mul_i32 s20, s17, s18
	s_mul_hi_u32 s17, s17, s21
	s_add_u32 s17, s17, s20
	s_addc_u32 s19, 0, s19
	s_mul_hi_u32 s22, s16, s21
	s_mul_i32 s21, s16, s21
	s_add_u32 s17, s17, s21
	s_mul_hi_u32 s20, s16, s18
	s_addc_u32 s17, s19, s22
	s_addc_u32 s19, s20, 0
	s_mul_i32 s18, s16, s18
	s_add_u32 s17, s17, s18
	s_addc_u32 s18, 0, s19
	v_add_co_u32_e32 v1, vcc, s17, v1
	s_cmp_lg_u64 vcc, 0
	s_addc_u32 s16, s16, s18
	v_readfirstlane_b32 s18, v1
	s_mul_i32 s17, s10, s16
	s_mul_hi_u32 s19, s10, s18
	s_add_i32 s17, s19, s17
	s_mul_i32 s11, s11, s18
	s_add_i32 s17, s17, s11
	s_mul_i32 s10, s10, s18
	s_mul_hi_u32 s19, s16, s10
	s_mul_i32 s20, s16, s10
	s_mul_i32 s22, s18, s17
	s_mul_hi_u32 s10, s18, s10
	s_mul_hi_u32 s21, s18, s17
	s_add_u32 s10, s10, s22
	s_addc_u32 s18, 0, s21
	s_add_u32 s10, s10, s20
	s_mul_hi_u32 s11, s16, s17
	s_addc_u32 s10, s18, s19
	s_addc_u32 s11, s11, 0
	s_mul_i32 s17, s16, s17
	s_add_u32 s10, s10, s17
	s_addc_u32 s11, 0, s11
	v_add_co_u32_e32 v1, vcc, s10, v1
	s_cmp_lg_u64 vcc, 0
	s_addc_u32 s18, s16, s11
	s_ashr_i32 s10, s3, 31
	s_add_u32 s16, s2, s10
	s_mov_b32 s11, s10
	s_addc_u32 s17, s3, s10
	s_xor_b64 s[16:17], s[16:17], s[10:11]
	v_readfirstlane_b32 s20, v1
	s_mul_i32 s19, s16, s18
	s_mul_hi_u32 s21, s16, s20
	s_mul_hi_u32 s3, s16, s18
	s_add_u32 s19, s21, s19
	s_addc_u32 s3, 0, s3
	s_mul_hi_u32 s22, s17, s20
	s_mul_i32 s20, s17, s20
	s_add_u32 s19, s19, s20
	s_mul_hi_u32 s21, s17, s18
	s_addc_u32 s3, s3, s22
	s_addc_u32 s19, s21, 0
	s_mul_i32 s18, s17, s18
	s_add_u32 s3, s3, s18
	s_addc_u32 s18, 0, s19
	s_add_u32 s19, s3, 1
	s_addc_u32 s20, s18, 0
	s_add_u32 s21, s3, 2
	s_mul_i32 s23, s9, s18
	s_mul_hi_u32 s24, s9, s3
	s_addc_u32 s22, s18, 0
	s_add_i32 s24, s24, s23
	s_mul_i32 s23, s9, s3
	v_mov_b32_e32 v1, s23
	v_sub_co_u32_e32 v1, vcc, s16, v1
	s_cmp_lg_u64 vcc, 0
	s_subb_u32 s16, s17, s24
	v_subrev_co_u32_e32 v2, vcc, s9, v1
	s_cmp_lg_u64 vcc, 0
	s_subb_u32 s17, s16, 0
	v_readfirstlane_b32 s23, v2
	s_cmp_ge_u32 s23, s9
	s_cselect_b32 s23, -1, 0
	s_cmp_eq_u32 s17, 0
	s_cselect_b32 s17, s23, -1
	s_cmp_lg_u32 s17, 0
	s_cselect_b32 s17, s22, s20
	v_readfirstlane_b32 s20, v1
	s_cselect_b32 s19, s21, s19
	s_cmp_ge_u32 s20, s9
	s_cselect_b32 s20, -1, 0
	s_cmp_eq_u32 s16, 0
	s_cselect_b32 s16, s20, -1
	s_cmp_lg_u32 s16, 0
	s_cselect_b32 s17, s17, s18
	s_cselect_b32 s16, s19, s3
	s_xor_b64 s[16:17], s[16:17], s[10:11]
	s_sub_u32 s20, s16, s10
	s_load_dwordx4 s[16:19], s[4:5], 0x44
	s_cbranch_execnz .LBB8_3
.LBB8_2:
	v_cvt_f32_u32_e32 v1, s9
	s_sub_i32 s0, 0, s9
	v_rcp_iflag_f32_e32 v1, v1
	v_mul_f32_e32 v1, 0x4f7ffffe, v1
	v_cvt_u32_f32_e32 v1, v1
	v_readfirstlane_b32 s1, v1
	s_mul_i32 s0, s0, s1
	s_mul_hi_u32 s0, s1, s0
	s_add_i32 s1, s1, s0
	s_mul_hi_u32 s0, s2, s1
	s_mul_i32 s3, s0, s9
	s_sub_i32 s2, s2, s3
	s_add_i32 s1, s0, 1
	s_sub_i32 s3, s2, s9
	s_cmp_ge_u32 s2, s9
	s_cselect_b32 s0, s1, s0
	s_cselect_b32 s2, s3, s2
	s_add_i32 s1, s0, 1
	s_cmp_ge_u32 s2, s9
	s_cselect_b32 s20, s1, s0
.LBB8_3:
	s_add_i32 s0, s6, 1
	s_mul_hi_i32 s3, s15, s0
	s_mov_b32 s2, 0
	s_cmp_lg_u64 s[2:3], 0
	s_mul_i32 s2, s15, s0
	s_cbranch_scc0 .LBB8_22
; %bb.4:
	v_cvt_f32_u32_e32 v1, s9
	v_cvt_f32_ubyte0_e32 v2, 0
	s_sub_u32 s10, 0, s9
	s_subb_u32 s11, 0, 0
	v_madmk_f32 v1, v2, 0x4f800000, v1
	v_rcp_f32_e32 v1, v1
	v_mul_f32_e32 v1, 0x5f7ffffc, v1
	v_mul_f32_e32 v2, 0x2f800000, v1
	v_trunc_f32_e32 v2, v2
	v_madmk_f32 v1, v2, 0xcf800000, v1
	v_cvt_u32_f32_e32 v2, v2
	v_cvt_u32_f32_e32 v1, v1
	s_waitcnt lgkmcnt(0)
	v_readfirstlane_b32 s19, v2
	v_readfirstlane_b32 s21, v1
	s_mul_i32 s22, s10, s19
	s_mul_hi_u32 s24, s10, s21
	s_mul_i32 s23, s11, s21
	s_add_i32 s22, s24, s22
	s_add_i32 s22, s22, s23
	s_mul_i32 s25, s10, s21
	s_mul_hi_u32 s23, s21, s22
	s_mul_i32 s24, s21, s22
	s_mul_hi_u32 s21, s21, s25
	s_add_u32 s21, s21, s24
	s_addc_u32 s23, 0, s23
	s_mul_hi_u32 s26, s19, s25
	s_mul_i32 s25, s19, s25
	s_add_u32 s21, s21, s25
	s_mul_hi_u32 s24, s19, s22
	s_addc_u32 s21, s23, s26
	s_addc_u32 s23, s24, 0
	s_mul_i32 s22, s19, s22
	s_add_u32 s21, s21, s22
	s_addc_u32 s22, 0, s23
	v_add_co_u32_e32 v1, vcc, s21, v1
	s_cmp_lg_u64 vcc, 0
	s_addc_u32 s19, s19, s22
	v_readfirstlane_b32 s22, v1
	s_mul_i32 s21, s10, s19
	s_mul_hi_u32 s23, s10, s22
	s_add_i32 s21, s23, s21
	s_mul_i32 s11, s11, s22
	s_add_i32 s21, s21, s11
	s_mul_i32 s10, s10, s22
	s_mul_hi_u32 s23, s19, s10
	s_mul_i32 s24, s19, s10
	s_mul_i32 s26, s22, s21
	s_mul_hi_u32 s10, s22, s10
	s_mul_hi_u32 s25, s22, s21
	s_add_u32 s10, s10, s26
	s_addc_u32 s22, 0, s25
	s_add_u32 s10, s10, s24
	s_mul_hi_u32 s11, s19, s21
	s_addc_u32 s10, s22, s23
	s_addc_u32 s11, s11, 0
	s_mul_i32 s21, s19, s21
	s_add_u32 s10, s10, s21
	s_addc_u32 s11, 0, s11
	v_add_co_u32_e32 v1, vcc, s10, v1
	s_cmp_lg_u64 vcc, 0
	s_addc_u32 s19, s19, s11
	s_ashr_i32 s10, s3, 31
	s_add_u32 s22, s2, s10
	s_mov_b32 s11, s10
	s_addc_u32 s23, s3, s10
	s_xor_b64 s[22:23], s[22:23], s[10:11]
	v_readfirstlane_b32 s21, v1
	s_mul_i32 s11, s22, s19
	s_mul_hi_u32 s24, s22, s21
	s_mul_hi_u32 s3, s22, s19
	s_add_u32 s11, s24, s11
	s_addc_u32 s3, 0, s3
	s_mul_hi_u32 s25, s23, s21
	s_mul_i32 s21, s23, s21
	s_add_u32 s11, s11, s21
	s_mul_hi_u32 s24, s23, s19
	s_addc_u32 s3, s3, s25
	s_addc_u32 s11, s24, 0
	s_mul_i32 s19, s23, s19
	s_add_u32 s3, s3, s19
	s_addc_u32 s11, 0, s11
	s_mul_i32 s11, s9, s11
	s_mul_hi_u32 s24, s9, s3
	s_add_i32 s24, s24, s11
	s_mul_i32 s11, s9, s3
	v_mov_b32_e32 v1, s11
	s_add_u32 s19, s3, 1
	s_add_u32 s21, s3, 2
	v_sub_co_u32_e32 v1, vcc, s22, v1
	s_cmp_lg_u64 vcc, 0
	s_subb_u32 s11, s23, s24
	v_subrev_co_u32_e32 v2, vcc, s9, v1
	s_cmp_lg_u64 vcc, 0
	s_subb_u32 s22, s11, 0
	v_cmp_le_u32_e32 vcc, s9, v2
	s_cmp_eq_u32 s22, 0
	v_cndmask_b32_e64 v2, 0, -1, vcc
	s_cselect_b64 vcc, -1, 0
	v_cndmask_b32_e32 v2, -1, v2, vcc
	v_mov_b32_e32 v3, s19
	v_mov_b32_e32 v4, s21
	v_cmp_ne_u32_e32 vcc, 0, v2
	v_cndmask_b32_e32 v2, v3, v4, vcc
	v_cmp_le_u32_e32 vcc, s9, v1
	s_cmp_eq_u32 s11, 0
	v_cndmask_b32_e64 v1, 0, -1, vcc
	s_cselect_b64 vcc, -1, 0
	v_cndmask_b32_e32 v1, -1, v1, vcc
	v_mov_b32_e32 v3, s3
	v_cmp_ne_u32_e32 vcc, 0, v1
	v_cndmask_b32_e32 v1, v3, v2, vcc
	v_xor_b32_e32 v1, s10, v1
	v_subrev_co_u32_e32 v2, vcc, s10, v1
	s_cbranch_execnz .LBB8_6
.LBB8_5:
	v_cvt_f32_u32_e32 v1, s9
	s_sub_i32 s0, 0, s9
	s_mov_b32 s1, 0
	v_rcp_iflag_f32_e32 v1, v1
	v_mul_f32_e32 v1, 0x4f7ffffe, v1
	v_cvt_u32_f32_e32 v1, v1
	v_readfirstlane_b32 s3, v1
	s_mul_i32 s0, s0, s3
	s_mul_hi_u32 s0, s3, s0
	s_add_i32 s3, s3, s0
	s_mul_hi_u32 s0, s2, s3
	s_mul_i32 s10, s0, s9
	s_sub_i32 s2, s2, s10
	s_add_i32 s3, s0, 1
	s_sub_i32 s10, s2, s9
	s_cmp_ge_u32 s2, s9
	s_cselect_b32 s0, s3, s0
	s_cselect_b32 s2, s10, s2
	s_add_i32 s3, s0, 1
	s_cmp_ge_u32 s2, s9
	s_cselect_b32 s0, s3, s0
	v_pk_mov_b32 v[2:3], s[0:1], s[0:1] op_sel:[0,1]
.LBB8_6:
	s_waitcnt lgkmcnt(0)
	s_mul_hi_u32 s0, s20, s16
	s_add_i32 s0, s0, s20
	v_mul_hi_u32 v1, v2, s16
	s_lshr_b32 s19, s0, s17
	v_add_u32_e32 v1, v1, v2
	s_mul_i32 s0, s19, s18
	v_lshrrev_b32_e32 v1, s17, v1
	s_cmp_eq_u32 s0, s20
	v_cmp_eq_u32_e64 s[0:1], s19, v1
	v_mul_lo_u32 v1, v1, s18
	v_cmp_eq_u32_e32 vcc, s20, v2
	s_cselect_b64 s[10:11], -1, 0
	v_cmp_ne_u32_e64 s[2:3], v1, v2
	s_and_b64 s[0:1], s[0:1], s[2:3]
	s_or_b64 s[2:3], vcc, s[10:11]
	s_or_b64 s[0:1], s[2:3], s[0:1]
	s_and_b64 vcc, exec, s[0:1]
	s_cbranch_vccnz .LBB8_24
; %bb.7:
	s_load_dwordx8 s[24:31], s[4:5], 0x20
	s_load_dword s0, s[4:5], 0x40
	s_mov_b32 s10, 0
	s_waitcnt lgkmcnt(0)
	s_mul_hi_u32 s1, s20, s24
	s_add_i32 s1, s1, s20
	s_lshr_b32 s11, s1, s25
	s_mul_i32 s1, s11, s26
	s_sub_i32 s1, s20, s1
	s_mul_hi_u32 s2, s1, s27
	s_add_i32 s2, s1, s2
	s_lshr_b32 s21, s2, s28
	s_mul_i32 s2, s21, s29
	s_sub_i32 s1, s1, s2
	;; [unrolled: 5-line block ×3, first 2 shown]
	s_mul_hi_u32 s1, s0, s16
	s_add_i32 s0, s0, s1
	s_lshr_b32 s22, s0, s17
	s_lshl_b32 s23, s2, 4
	s_add_i32 s22, s22, s7
	s_cmp_lt_i32 s22, s12
	s_cselect_b64 s[0:1], -1, 0
	s_add_i32 s23, s23, s8
	s_cmp_lt_i32 s23, s14
	s_cselect_b64 s[2:3], -1, 0
	s_and_b64 s[0:1], s[0:1], s[2:3]
	s_andn2_b64 vcc, exec, s[0:1]
	s_cbranch_vccnz .LBB8_24
; %bb.8:
	s_load_dwordx4 s[0:3], s[4:5], 0x0
	s_lshl_b32 s4, s9, 6
	s_mov_b32 s5, s10
	s_lshl_b64 s[4:5], s[4:5], 2
	s_mul_i32 s24, s21, s14
	s_waitcnt lgkmcnt(0)
	s_add_u32 s14, s2, s4
	s_mul_i32 s11, s11, s12
	s_addc_u32 s21, s3, s5
	s_add_i32 s4, s22, s11
	s_mul_i32 s4, s4, s13
	s_add_i32 s5, s23, s24
	s_add_i32 s5, s5, s4
	v_lshl_or_b32 v2, s5, 7, v0
	v_ashrrev_i32_e32 v3, 31, v2
	v_lshlrev_b64 v[2:3], 2, v[2:3]
	v_mov_b32_e32 v1, s1
	v_add_co_u32_e32 v2, vcc, s0, v2
	v_addc_co_u32_e32 v3, vcc, v1, v3, vcc
	global_load_dword v5, v[2:3], off
	v_lshl_or_b32 v4, s8, 7, v0
	v_cvt_f32_u32_e32 v0, s9
	v_cvt_f32_ubyte0_e32 v1, 0
	s_add_i32 s0, s7, s6
	s_lshl_b32 s0, s0, 4
	v_mac_f32_e32 v0, 0x4f800000, v1
	v_rcp_f32_e32 v0, v0
	v_cvt_f32_u32_e32 v1, s9
	s_add_i32 s0, s0, s8
	s_ashr_i32 s1, s0, 31
	s_lshl_b64 s[0:1], s[0:1], 3
	v_mul_f32_e32 v0, 0x5f7ffffc, v0
	v_rcp_iflag_f32_e32 v1, v1
	s_add_u32 s0, s2, s0
	v_mul_f32_e32 v9, 0x2f800000, v0
	s_addc_u32 s1, s3, s1
	v_trunc_f32_e32 v10, v9
	s_load_dwordx2 s[0:1], s[0:1], 0x0
	v_mac_f32_e32 v0, 0xcf800000, v10
	v_cvt_u32_f32_e32 v9, v0
	v_mul_f32_e32 v0, 0x4f7ffffe, v1
	v_cvt_u32_f32_e32 v10, v10
	v_cvt_u32_f32_e32 v11, v0
	s_add_i32 s13, s6, -1
	s_waitcnt lgkmcnt(0)
	v_mov_b32_e32 v6, s1
	v_mov_b32_e32 v7, s0
	;; [unrolled: 1-line block ×3, first 2 shown]
	s_mov_b32 s6, 0x3fb8aa3b
	s_mov_b32 s12, 0xc2ce8ed0
	;; [unrolled: 1-line block ×4, first 2 shown]
	v_mov_b32_e32 v12, 0x7f800000
	s_mul_hi_i32 s11, s13, s15
	s_cmp_lg_u64 s[10:11], 0
	s_mul_i32 s4, s13, s15
	s_cbranch_scc0 .LBB8_15
.LBB8_9:
	s_sub_u32 s0, 0, s9
	v_readfirstlane_b32 s5, v9
	v_readfirstlane_b32 s25, v10
	s_subb_u32 s1, 0, 0
	s_mul_hi_u32 s24, s0, s5
	s_mul_i32 s26, s0, s25
	s_mul_i32 s23, s1, s5
	s_add_i32 s24, s24, s26
	s_add_i32 s24, s24, s23
	s_mul_i32 s27, s0, s5
	s_mul_hi_u32 s23, s5, s24
	s_mul_i32 s26, s5, s24
	s_mul_hi_u32 s5, s5, s27
	s_add_u32 s5, s5, s26
	s_addc_u32 s23, 0, s23
	s_mul_hi_u32 s28, s25, s27
	s_mul_i32 s27, s25, s27
	s_add_u32 s5, s5, s27
	s_mul_hi_u32 s26, s25, s24
	s_addc_u32 s5, s23, s28
	s_addc_u32 s23, s26, 0
	s_mul_i32 s24, s25, s24
	s_add_u32 s5, s5, s24
	s_addc_u32 s23, 0, s23
	v_add_co_u32_e32 v0, vcc, s5, v9
	s_cmp_lg_u64 vcc, 0
	s_addc_u32 s5, s25, s23
	v_readfirstlane_b32 s24, v0
	s_mul_i32 s23, s0, s5
	s_mul_hi_u32 s25, s0, s24
	s_add_i32 s23, s25, s23
	s_mul_i32 s1, s1, s24
	s_add_i32 s23, s23, s1
	s_mul_i32 s0, s0, s24
	s_mul_hi_u32 s25, s5, s0
	s_mul_i32 s26, s5, s0
	s_mul_i32 s28, s24, s23
	s_mul_hi_u32 s0, s24, s0
	s_mul_hi_u32 s27, s24, s23
	s_add_u32 s0, s0, s28
	s_addc_u32 s24, 0, s27
	s_add_u32 s0, s0, s26
	s_mul_hi_u32 s1, s5, s23
	s_addc_u32 s0, s24, s25
	s_addc_u32 s1, s1, 0
	s_mul_i32 s23, s5, s23
	s_add_u32 s0, s0, s23
	s_addc_u32 s1, 0, s1
	v_add_co_u32_e32 v0, vcc, s0, v0
	s_cmp_lg_u64 vcc, 0
	s_addc_u32 s5, s5, s1
	s_ashr_i32 s0, s11, 31
	s_add_u32 s24, s4, s0
	s_mov_b32 s1, s0
	s_addc_u32 s25, s11, s0
	s_xor_b64 s[24:25], s[24:25], s[0:1]
	v_readfirstlane_b32 s23, v0
	s_mul_i32 s11, s24, s5
	s_mul_hi_u32 s26, s24, s23
	s_mul_hi_u32 s1, s24, s5
	s_add_u32 s11, s26, s11
	s_addc_u32 s1, 0, s1
	s_mul_hi_u32 s27, s25, s23
	s_mul_i32 s23, s25, s23
	s_add_u32 s11, s11, s23
	s_mul_hi_u32 s26, s25, s5
	s_addc_u32 s1, s1, s27
	s_addc_u32 s11, s26, 0
	s_mul_i32 s5, s25, s5
	s_add_u32 s1, s1, s5
	s_addc_u32 s5, 0, s11
	s_mul_i32 s5, s9, s5
	s_mul_hi_u32 s26, s9, s1
	s_add_i32 s26, s26, s5
	s_mul_i32 s5, s9, s1
	v_mov_b32_e32 v0, s5
	s_add_u32 s11, s1, 1
	s_add_u32 s23, s1, 2
	v_sub_co_u32_e32 v0, vcc, s24, v0
	s_cmp_lg_u64 vcc, 0
	s_subb_u32 s5, s25, s26
	v_subrev_co_u32_e32 v1, vcc, s9, v0
	s_cmp_lg_u64 vcc, 0
	s_subb_u32 s24, s5, 0
	v_cmp_le_u32_e32 vcc, s9, v1
	s_cmp_eq_u32 s24, 0
	v_cndmask_b32_e64 v1, 0, -1, vcc
	s_cselect_b64 vcc, -1, 0
	v_cndmask_b32_e32 v1, -1, v1, vcc
	v_mov_b32_e32 v13, s11
	v_mov_b32_e32 v14, s23
	v_cmp_ne_u32_e32 vcc, 0, v1
	v_cndmask_b32_e32 v1, v13, v14, vcc
	v_cmp_le_u32_e32 vcc, s9, v0
	s_cmp_eq_u32 s5, 0
	v_cndmask_b32_e64 v0, 0, -1, vcc
	s_cselect_b64 vcc, -1, 0
	v_cndmask_b32_e32 v0, -1, v0, vcc
	v_mov_b32_e32 v13, s1
	v_cmp_ne_u32_e32 vcc, 0, v0
	v_cndmask_b32_e32 v0, v13, v1, vcc
	v_xor_b32_e32 v0, s0, v0
	v_subrev_co_u32_e32 v0, vcc, s0, v0
	s_cbranch_execnz .LBB8_11
.LBB8_10:
	s_sub_i32 s0, 0, s9
	v_mul_lo_u32 v0, s0, v11
	v_mul_hi_u32 v0, v11, v0
	v_add_u32_e32 v0, v11, v0
	v_mul_hi_u32 v0, s4, v0
	v_mul_lo_u32 v13, v0, s9
	v_sub_u32_e32 v13, s4, v13
	v_add_u32_e32 v1, 1, v0
	v_subrev_u32_e32 v14, s9, v13
	v_cmp_le_u32_e32 vcc, s9, v13
	v_cndmask_b32_e32 v13, v13, v14, vcc
	v_cndmask_b32_e32 v0, v0, v1, vcc
	v_add_u32_e32 v1, 1, v0
	v_cmp_le_u32_e32 vcc, s9, v13
	v_cndmask_b32_e32 v0, v0, v1, vcc
.LBB8_11:
	v_cmp_ne_u32_e32 vcc, v8, v0
	s_cbranch_vccz .LBB8_14
; %bb.12:
	s_add_i32 s23, s13, s7
	s_add_i32 s0, s23, s9
	s_lshl_b32 s0, s0, 4
	v_mul_hi_u32 v1, v0, s16
	s_add_i32 s0, s0, s8
	s_mov_b32 s1, s10
	v_add_u32_e32 v1, v1, v0
	s_lshl_b64 s[0:1], s[0:1], 3
	v_lshrrev_b32_e32 v1, s17, v1
	s_add_u32 s4, s2, s0
	v_mul_lo_u32 v13, v1, s18
	s_addc_u32 s5, s3, s1
	v_cmp_eq_u32_e32 vcc, v13, v0
	v_cmp_gt_u32_e64 s[0:1], s19, v1
	s_or_b64 s[0:1], s[0:1], vcc
	s_and_b64 vcc, exec, s[0:1]
	s_cbranch_vccnz .LBB8_16
; %bb.13:
	s_add_i32 s11, s13, -1
	s_mov_b64 s[0:1], 0
	s_branch .LBB8_17
.LBB8_14:
                                        ; implicit-def: $sgpr0_sgpr1
                                        ; implicit-def: $vgpr14
                                        ; implicit-def: $vgpr1
                                        ; implicit-def: $vgpr13
                                        ; implicit-def: $sgpr11
                                        ; implicit-def: $vgpr0
	s_branch .LBB8_18
.LBB8_15:
                                        ; implicit-def: $vgpr0_vgpr1
	s_branch .LBB8_10
.LBB8_16:
	s_mov_b64 s[0:1], -1
	s_mov_b32 s11, s13
	v_mov_b32_e32 v0, v8
.LBB8_17:
	v_lshl_add_u32 v14, s23, 11, v4
	v_ashrrev_i32_e32 v15, 31, v14
	v_lshlrev_b64 v[14:15], 2, v[14:15]
	v_mov_b32_e32 v1, s21
	v_add_co_u32_e32 v14, vcc, s14, v14
	v_addc_co_u32_e32 v15, vcc, v1, v15, vcc
	global_load_dword v14, v[14:15], off
	s_load_dwordx2 s[4:5], s[4:5], 0x0
	v_max_f32_e32 v1, v7, v7
	s_waitcnt lgkmcnt(0)
	v_max_f32_e64 v13, s4, s4
	v_max_f32_e32 v1, v1, v13
	v_sub_f32_e32 v13, v7, v1
	v_sub_f32_e32 v15, s4, v1
	v_mul_f32_e32 v16, 0x3fb8aa3b, v13
	v_mul_f32_e32 v17, 0x3fb8aa3b, v15
	v_fma_f32 v18, v13, s6, -v16
	v_rndne_f32_e32 v19, v16
	v_fma_f32 v20, v15, s6, -v17
	v_rndne_f32_e32 v21, v17
	v_fmac_f32_e32 v18, 0x32a5705f, v13
	v_sub_f32_e32 v16, v16, v19
	v_fmac_f32_e32 v20, 0x32a5705f, v15
	v_sub_f32_e32 v17, v17, v21
	v_add_f32_e32 v16, v16, v18
	v_cvt_i32_f32_e32 v19, v19
	v_add_f32_e32 v17, v17, v20
	v_exp_f32_e32 v16, v16
	v_cvt_i32_f32_e32 v21, v21
	v_exp_f32_e32 v17, v17
	v_cmp_ngt_f32_e32 vcc, s12, v13
	v_ldexp_f32 v16, v16, v19
	v_cndmask_b32_e32 v16, 0, v16, vcc
	v_ldexp_f32 v17, v17, v21
	v_cmp_ngt_f32_e32 vcc, s12, v15
	v_cndmask_b32_e32 v17, 0, v17, vcc
	v_cmp_nlt_f32_e32 vcc, s20, v13
	v_cndmask_b32_e32 v16, v12, v16, vcc
	v_cmp_nlt_f32_e32 vcc, s20, v15
	v_cndmask_b32_e32 v17, v12, v17, vcc
	v_cmp_le_f32_e32 vcc, s22, v13
	v_cndmask_b32_e32 v16, 0, v16, vcc
	v_cmp_le_f32_e32 vcc, s22, v15
	v_cndmask_b32_e32 v15, 0, v17, vcc
	v_mul_f32_e32 v13, s5, v15
	v_fmac_f32_e32 v13, v6, v16
	s_waitcnt vmcnt(0)
	v_mul_f32_e32 v14, v14, v15
	v_fmac_f32_e32 v14, v5, v16
	s_cbranch_execnz .LBB8_19
.LBB8_18:
	s_add_i32 s11, s13, -1
	s_mov_b64 s[0:1], 0
	v_mov_b32_e32 v0, v8
	v_mov_b32_e32 v13, v6
	;; [unrolled: 1-line block ×3, first 2 shown]
	s_waitcnt vmcnt(0)
	v_mov_b32_e32 v14, v5
.LBB8_19:
	s_andn2_b64 vcc, exec, s[0:1]
	s_cbranch_vccz .LBB8_23
; %bb.20:
	v_mov_b32_e32 v8, v0
	s_mov_b32 s13, s11
	v_mov_b32_e32 v6, v13
	v_mov_b32_e32 v7, v1
	s_waitcnt vmcnt(0)
	v_mov_b32_e32 v5, v14
	s_mul_hi_i32 s11, s13, s15
	s_cmp_lg_u64 s[10:11], 0
	s_mul_i32 s4, s13, s15
	s_cbranch_scc1 .LBB8_9
	s_branch .LBB8_15
.LBB8_21:
                                        ; implicit-def: $sgpr20_sgpr21
	s_load_dwordx4 s[16:19], s[4:5], 0x44
	s_branch .LBB8_2
.LBB8_22:
                                        ; implicit-def: $vgpr2_vgpr3
	s_branch .LBB8_5
.LBB8_23:
	v_div_scale_f32 v0, s[0:1], v13, v13, v14
	v_rcp_f32_e32 v1, v0
	v_div_scale_f32 v4, vcc, v14, v13, v14
	s_waitcnt vmcnt(0)
	v_fma_f32 v5, -v0, v1, 1.0
	v_fmac_f32_e32 v1, v5, v1
	v_mul_f32_e32 v5, v4, v1
	v_fma_f32 v6, -v0, v5, v4
	v_fmac_f32_e32 v5, v6, v1
	v_fma_f32 v0, -v0, v5, v4
	v_div_fmas_f32 v0, v0, v1, v5
	v_div_fixup_f32 v0, v0, v13, v14
	global_store_dword v[2:3], v0, off
.LBB8_24:
	s_endpgm
	.section	.rodata,"a",@progbits
	.p2align	6, 0x0
	.amdhsa_kernel _ZL33flash_attn_stream_k_fixup_generalILi128ELi1ELi16EEvPfPK15HIP_vector_typeIfLj2EEiiiiS1_IjLj3EES5_S5_S5_
		.amdhsa_group_segment_fixed_size 0
		.amdhsa_private_segment_fixed_size 0
		.amdhsa_kernarg_size 336
		.amdhsa_user_sgpr_count 6
		.amdhsa_user_sgpr_private_segment_buffer 1
		.amdhsa_user_sgpr_dispatch_ptr 0
		.amdhsa_user_sgpr_queue_ptr 0
		.amdhsa_user_sgpr_kernarg_segment_ptr 1
		.amdhsa_user_sgpr_dispatch_id 0
		.amdhsa_user_sgpr_flat_scratch_init 0
		.amdhsa_user_sgpr_kernarg_preload_length 0
		.amdhsa_user_sgpr_kernarg_preload_offset 0
		.amdhsa_user_sgpr_private_segment_size 0
		.amdhsa_uses_dynamic_stack 0
		.amdhsa_system_sgpr_private_segment_wavefront_offset 0
		.amdhsa_system_sgpr_workgroup_id_x 1
		.amdhsa_system_sgpr_workgroup_id_y 1
		.amdhsa_system_sgpr_workgroup_id_z 1
		.amdhsa_system_sgpr_workgroup_info 0
		.amdhsa_system_vgpr_workitem_id 0
		.amdhsa_next_free_vgpr 22
		.amdhsa_next_free_sgpr 32
		.amdhsa_accum_offset 24
		.amdhsa_reserve_vcc 1
		.amdhsa_reserve_flat_scratch 0
		.amdhsa_float_round_mode_32 0
		.amdhsa_float_round_mode_16_64 0
		.amdhsa_float_denorm_mode_32 3
		.amdhsa_float_denorm_mode_16_64 3
		.amdhsa_dx10_clamp 1
		.amdhsa_ieee_mode 1
		.amdhsa_fp16_overflow 0
		.amdhsa_tg_split 0
		.amdhsa_exception_fp_ieee_invalid_op 0
		.amdhsa_exception_fp_denorm_src 0
		.amdhsa_exception_fp_ieee_div_zero 0
		.amdhsa_exception_fp_ieee_overflow 0
		.amdhsa_exception_fp_ieee_underflow 0
		.amdhsa_exception_fp_ieee_inexact 0
		.amdhsa_exception_int_div_zero 0
	.end_amdhsa_kernel
	.section	.text._ZL33flash_attn_stream_k_fixup_generalILi128ELi1ELi16EEvPfPK15HIP_vector_typeIfLj2EEiiiiS1_IjLj3EES5_S5_S5_,"axG",@progbits,_ZL33flash_attn_stream_k_fixup_generalILi128ELi1ELi16EEvPfPK15HIP_vector_typeIfLj2EEiiiiS1_IjLj3EES5_S5_S5_,comdat
.Lfunc_end8:
	.size	_ZL33flash_attn_stream_k_fixup_generalILi128ELi1ELi16EEvPfPK15HIP_vector_typeIfLj2EEiiiiS1_IjLj3EES5_S5_S5_, .Lfunc_end8-_ZL33flash_attn_stream_k_fixup_generalILi128ELi1ELi16EEvPfPK15HIP_vector_typeIfLj2EEiiiiS1_IjLj3EES5_S5_S5_
                                        ; -- End function
	.section	.AMDGPU.csdata,"",@progbits
; Kernel info:
; codeLenInByte = 2804
; NumSgprs: 36
; NumVgprs: 22
; NumAgprs: 0
; TotalNumVgprs: 22
; ScratchSize: 0
; MemoryBound: 0
; FloatMode: 240
; IeeeMode: 1
; LDSByteSize: 0 bytes/workgroup (compile time only)
; SGPRBlocks: 4
; VGPRBlocks: 2
; NumSGPRsForWavesPerEU: 36
; NumVGPRsForWavesPerEU: 22
; AccumOffset: 24
; Occupancy: 8
; WaveLimiterHint : 0
; COMPUTE_PGM_RSRC2:SCRATCH_EN: 0
; COMPUTE_PGM_RSRC2:USER_SGPR: 6
; COMPUTE_PGM_RSRC2:TRAP_HANDLER: 0
; COMPUTE_PGM_RSRC2:TGID_X_EN: 1
; COMPUTE_PGM_RSRC2:TGID_Y_EN: 1
; COMPUTE_PGM_RSRC2:TGID_Z_EN: 1
; COMPUTE_PGM_RSRC2:TIDIG_COMP_CNT: 0
; COMPUTE_PGM_RSRC3_GFX90A:ACCUM_OFFSET: 5
; COMPUTE_PGM_RSRC3_GFX90A:TG_SPLIT: 0
	.section	.text._ZL15flash_attn_tileILi192ELi128ELi4ELi8ELb0EEvPKcS1_S1_S1_S1_PKiPfP15HIP_vector_typeIfLj2EEffffjfiS5_IjLj3EEiiiiiiiiiiiliiliiiiil,"axG",@progbits,_ZL15flash_attn_tileILi192ELi128ELi4ELi8ELb0EEvPKcS1_S1_S1_S1_PKiPfP15HIP_vector_typeIfLj2EEffffjfiS5_IjLj3EEiiiiiiiiiiiliiliiiiil,comdat
	.globl	_ZL15flash_attn_tileILi192ELi128ELi4ELi8ELb0EEvPKcS1_S1_S1_S1_PKiPfP15HIP_vector_typeIfLj2EEffffjfiS5_IjLj3EEiiiiiiiiiiiliiliiiiil ; -- Begin function _ZL15flash_attn_tileILi192ELi128ELi4ELi8ELb0EEvPKcS1_S1_S1_S1_PKiPfP15HIP_vector_typeIfLj2EEffffjfiS5_IjLj3EEiiiiiiiiiiiliiliiiiil
	.p2align	8
	.type	_ZL15flash_attn_tileILi192ELi128ELi4ELi8ELb0EEvPKcS1_S1_S1_S1_PKiPfP15HIP_vector_typeIfLj2EEffffjfiS5_IjLj3EEiiiiiiiiiiiliiliiiiil,@function
_ZL15flash_attn_tileILi192ELi128ELi4ELi8ELb0EEvPKcS1_S1_S1_S1_PKiPfP15HIP_vector_typeIfLj2EEffffjfiS5_IjLj3EEiiiiiiiiiiiliiliiiiil: ; @_ZL15flash_attn_tileILi192ELi128ELi4ELi8ELb0EEvPKcS1_S1_S1_S1_PKiPfP15HIP_vector_typeIfLj2EEffffjfiS5_IjLj3EEiiiiiiiiiiiliiliiiiil
; %bb.0:
	s_load_dwordx4 s[28:31], s[4:5], 0x5c
	s_load_dwordx2 s[34:35], s[4:5], 0x80
	s_load_dwordx16 s[12:27], s[4:5], 0x0
	s_mov_b64 s[36:37], 0
	s_waitcnt lgkmcnt(0)
	s_ashr_i32 s0, s31, 31
	s_lshr_b32 s0, s0, 29
	s_add_i32 s0, s31, s0
	s_ashr_i32 s0, s0, 3
	v_cvt_f32_u32_e32 v1, s0
	s_sub_i32 s1, 0, s0
	v_rcp_iflag_f32_e32 v1, v1
	v_mul_f32_e32 v1, 0x4f7ffffe, v1
	v_cvt_u32_f32_e32 v1, v1
	v_readfirstlane_b32 s2, v1
	s_mul_i32 s1, s1, s2
	s_mul_hi_u32 s1, s2, s1
	s_add_i32 s2, s2, s1
	s_mul_hi_u32 s1, s8, s2
	s_mul_i32 s2, s1, s0
	s_sub_i32 s2, s8, s2
	s_add_i32 s3, s1, 1
	s_sub_i32 s9, s2, s0
	s_cmp_ge_u32 s2, s0
	s_cselect_b32 s1, s3, s1
	s_cselect_b32 s2, s9, s2
	s_add_i32 s3, s1, 1
	s_cmp_ge_u32 s2, s0
	s_cselect_b32 s33, s3, s1
	s_abs_i32 s0, s35
	v_cvt_f32_u32_e32 v1, s0
	s_lshl_b32 s1, s8, 3
	s_mul_i32 s8, s33, s31
	s_xor_b32 s2, s31, s35
	v_rcp_iflag_f32_e32 v1, v1
	s_sub_i32 s9, 0, s0
	s_sub_i32 s35, s1, s8
	s_abs_i32 s3, s31
	v_mul_f32_e32 v1, 0x4f7ffffe, v1
	v_cvt_u32_f32_e32 v1, v1
	s_ashr_i32 s2, s2, 31
	v_readfirstlane_b32 s1, v1
	s_mul_i32 s9, s9, s1
	s_mul_hi_u32 s8, s1, s9
	s_add_i32 s1, s1, s8
	s_mul_hi_u32 s1, s3, s1
	s_mul_i32 s8, s1, s0
	s_sub_i32 s3, s3, s8
	s_add_i32 s9, s1, 1
	s_sub_i32 s8, s3, s0
	s_cmp_ge_u32 s3, s0
	s_cselect_b32 s1, s9, s1
	s_cselect_b32 s3, s8, s3
	s_add_i32 s8, s1, 1
	s_cmp_ge_u32 s3, s0
	s_cselect_b32 s0, s8, s1
	s_xor_b32 s0, s0, s2
	s_sub_i32 s39, s0, s2
	s_abs_i32 s38, s39
	v_cvt_f32_u32_e32 v1, s38
	s_load_dwordx2 s[8:9], s[4:5], 0xb8
	s_cmp_eq_u64 s[18:19], 0
	v_rcp_iflag_f32_e32 v1, v1
	v_mul_f32_e32 v1, 0x4f7ffffe, v1
	v_cvt_u32_f32_e32 v1, v1
	v_readfirstlane_b32 s40, v1
	s_cbranch_scc1 .LBB9_2
; %bb.1:
	s_waitcnt lgkmcnt(0)
	s_abs_i32 s2, s8
	v_cvt_f32_u32_e32 v1, s2
	s_sub_i32 s10, 0, s2
	s_abs_i32 s8, s33
	s_ashr_i32 s3, s33, 31
	v_rcp_iflag_f32_e32 v1, v1
	s_load_dwordx2 s[0:1], s[4:5], 0xc8
	v_mul_f32_e32 v1, 0x4f7ffffe, v1
	v_cvt_u32_f32_e32 v1, v1
	v_readfirstlane_b32 s11, v1
	s_mul_i32 s10, s10, s11
	s_mul_hi_u32 s10, s11, s10
	s_add_i32 s11, s11, s10
	s_mul_hi_u32 s10, s8, s11
	s_mul_i32 s10, s10, s2
	s_sub_i32 s8, s8, s10
	s_sub_i32 s10, s8, s2
	s_cmp_ge_u32 s8, s2
	s_cselect_b32 s8, s10, s8
	s_sub_i32 s10, s8, s2
	s_cmp_ge_u32 s8, s2
	s_cselect_b32 s2, s10, s8
	s_xor_b32 s2, s2, s3
	s_sub_i32 s2, s2, s3
	s_ashr_i32 s3, s2, 31
	s_waitcnt lgkmcnt(0)
	s_mul_i32 s1, s2, s1
	s_mul_hi_u32 s8, s2, s0
	s_add_i32 s1, s8, s1
	s_mul_i32 s3, s3, s0
	s_add_i32 s1, s1, s3
	s_mul_i32 s2, s2, s0
	s_add_u32 s36, s18, s2
	s_addc_u32 s37, s19, s1
.LBB9_2:
	s_load_dwordx4 s[0:3], s[4:5], 0x70
	v_bfe_u32 v18, v0, 10, 10
	v_lshrrev_b32_e32 v1, 1, v18
	v_lshl_add_u32 v5, s6, 2, v1
	v_and_b32_e32 v4, 0x3ff, v0
	s_waitcnt lgkmcnt(0)
	s_mul_i32 s2, s33, s2
	s_ashr_i32 s8, s2, 31
	v_mul_hi_u32 v0, s28, v5
	s_mul_i32 s3, s35, s1
	s_add_u32 s2, s12, s2
	v_add_u32_e32 v0, v5, v0
	s_addc_u32 s8, s13, s8
	s_ashr_i32 s10, s3, 31
	v_lshrrev_b32_e32 v0, s29, v0
	s_add_u32 s12, s2, s3
	v_mul_lo_u32 v0, v0, s30
	s_addc_u32 s8, s8, s10
	v_sub_u32_e32 v16, v5, v0
	s_ashr_i32 s10, s0, 31
	v_mov_b32_e32 v0, s0
	v_alignbit_b32 v0, s10, v0, 2
	v_mad_u64_u32 v[0:1], s[2:3], v0, v16, 0
	v_mov_b32_e32 v2, v1
	s_lshr_b32 s0, s10, 2
	v_mad_u64_u32 v[2:3], s[2:3], s0, v16, v[2:3]
	v_mov_b32_e32 v1, v2
	v_lshlrev_b64 v[0:1], 2, v[0:1]
	v_mov_b32_e32 v2, s8
	v_add_co_u32_e32 v0, vcc, s12, v0
	v_addc_co_u32_e32 v1, vcc, v2, v1, vcc
	v_lshlrev_b32_e32 v2, 4, v4
	v_lshlrev_b32_e32 v19, 2, v18
	s_ashr_i32 s11, s1, 31
	v_add_co_u32_e32 v2, vcc, v0, v2
	v_mov_b32_e32 v0, s1
	v_and_b32_e32 v7, 4, v19
	s_lshr_b32 s0, s11, 2
	v_alignbit_b32 v0, s11, v0, 2
	v_addc_co_u32_e32 v3, vcc, 0, v1, vcc
	v_mul_lo_u32 v6, s0, v7
	v_mad_u64_u32 v[0:1], s[2:3], v0, v7, 0
	v_or_b32_e32 v1, v1, v6
	v_lshlrev_b64 v[0:1], 2, v[0:1]
	v_add_co_u32_e32 v0, vcc, v2, v0
	v_addc_co_u32_e32 v1, vcc, v3, v1, vcc
	global_load_dwordx4 v[10:13], v[0:1], off
	s_load_dword s2, s[4:5], 0x40
	v_lshlrev_b32_e32 v6, 1, v4
	v_mul_u32_u24_e32 v8, 0x180, v18
	s_mov_b32 s10, s1
	v_add_lshl_u32 v8, v8, v6, 2
	s_waitcnt lgkmcnt(0)
	s_mov_b32 s3, s2
	s_lshr_b64 s[10:11], s[10:11], 2
	v_cmp_gt_u32_e32 vcc, 16, v4
	s_waitcnt vmcnt(0)
	v_pk_mul_f32 v[10:11], v[10:11], s[2:3] op_sel_hi:[1,0]
	v_pk_mul_f32 v[12:13], v[12:13], s[2:3] op_sel_hi:[1,0]
	v_cvt_f16_f32_e32 v9, v11
	v_cvt_f16_f32_e32 v11, v13
	;; [unrolled: 1-line block ×4, first 2 shown]
	v_pack_b32_f16 v11, v12, v11
	v_pack_b32_f16 v10, v10, v9
	ds_write_b64 v8, v[10:11]
	s_and_saveexec_b64 s[0:1], vcc
	s_cbranch_execz .LBB9_4
; %bb.3:
	global_load_dwordx4 v[10:13], v[0:1], off offset:512
	s_waitcnt vmcnt(0)
	v_pk_mul_f32 v[0:1], v[10:11], s[2:3]
	v_pk_mul_f32 v[10:11], v[12:13], s[2:3]
	v_cvt_f16_f32_e32 v1, v1
	v_cvt_f16_f32_e32 v0, v0
	;; [unrolled: 1-line block ×4, first 2 shown]
	v_pack_b32_f16 v0, v0, v1
	v_pack_b32_f16 v1, v10, v9
	ds_write_b64 v8, v[0:1] offset:256
.LBB9_4:
	s_or_b64 exec, exec, s[0:1]
	v_or_b32_e32 v12, 1, v19
	v_and_b32_e32 v9, 5, v12
	v_mad_u64_u32 v[0:1], s[0:1], s10, v9, 0
	v_mov_b32_e32 v8, v1
	v_mad_u64_u32 v[8:9], s[0:1], s11, v9, v[8:9]
	v_mov_b32_e32 v1, v8
	v_lshlrev_b64 v[0:1], 2, v[0:1]
	v_add_co_u32_e64 v0, s[0:1], v2, v0
	v_addc_co_u32_e64 v1, s[0:1], v3, v1, s[0:1]
	global_load_dwordx4 v[8:11], v[0:1], off
	s_waitcnt vmcnt(0)
	v_pk_mul_f32 v[8:9], v[8:9], s[2:3]
	v_pk_mul_f32 v[10:11], v[10:11], s[2:3]
	v_cvt_f16_f32_e32 v13, v9
	v_cvt_f16_f32_e32 v9, v11
	;; [unrolled: 1-line block ×4, first 2 shown]
	v_mul_u32_u24_e32 v11, 0x60, v12
	v_add_lshl_u32 v6, v11, v6, 2
	v_pack_b32_f16 v9, v10, v9
	v_pack_b32_f16 v8, v8, v13
	ds_write_b64 v6, v[8:9]
	s_and_saveexec_b64 s[0:1], vcc
	s_cbranch_execz .LBB9_6
; %bb.5:
	global_load_dwordx4 v[8:11], v[0:1], off offset:512
	s_waitcnt vmcnt(0)
	v_pk_mul_f32 v[0:1], v[8:9], s[2:3]
	v_pk_mul_f32 v[8:9], v[10:11], s[2:3]
	v_cvt_f16_f32_e32 v1, v1
	v_cvt_f16_f32_e32 v0, v0
	;; [unrolled: 1-line block ×4, first 2 shown]
	v_pack_b32_f16 v0, v0, v1
	v_pack_b32_f16 v1, v8, v9
	ds_write_b64 v6, v[0:1] offset:256
.LBB9_6:
	s_or_b64 exec, exec, s[0:1]
	v_or_b32_e32 v0, 2, v19
	v_and_b32_e32 v9, 6, v0
	v_mad_u64_u32 v[0:1], s[0:1], s10, v9, 0
	v_mov_b32_e32 v8, v1
	v_mad_u64_u32 v[8:9], s[0:1], s11, v9, v[8:9]
	v_mov_b32_e32 v1, v8
	v_lshlrev_b64 v[0:1], 2, v[0:1]
	v_add_co_u32_e64 v0, s[0:1], v2, v0
	v_addc_co_u32_e64 v1, s[0:1], v3, v1, s[0:1]
	global_load_dwordx4 v[8:11], v[0:1], off
	s_waitcnt vmcnt(0)
	v_pk_mul_f32 v[8:9], v[8:9], s[2:3]
	v_pk_mul_f32 v[10:11], v[10:11], s[2:3]
	v_cvt_f16_f32_e32 v12, v9
	v_cvt_f16_f32_e32 v9, v11
	;; [unrolled: 1-line block ×4, first 2 shown]
	v_pack_b32_f16 v9, v10, v9
	v_pack_b32_f16 v8, v8, v12
	ds_write_b64 v6, v[8:9] offset:384
	s_and_saveexec_b64 s[0:1], vcc
	s_cbranch_execz .LBB9_8
; %bb.7:
	global_load_dwordx4 v[8:11], v[0:1], off offset:512
	s_waitcnt vmcnt(0)
	v_pk_mul_f32 v[0:1], v[8:9], s[2:3]
	v_pk_mul_f32 v[8:9], v[10:11], s[2:3]
	v_cvt_f16_f32_e32 v1, v1
	v_cvt_f16_f32_e32 v0, v0
	;; [unrolled: 1-line block ×4, first 2 shown]
	v_pack_b32_f16 v0, v0, v1
	v_pack_b32_f16 v1, v8, v9
	ds_write_b64 v6, v[0:1] offset:640
.LBB9_8:
	s_or_b64 exec, exec, s[0:1]
	v_or_b32_e32 v0, 3, v19
	v_and_b32_e32 v9, 7, v0
	v_mad_u64_u32 v[0:1], s[0:1], s10, v9, 0
	v_mov_b32_e32 v8, v1
	v_mad_u64_u32 v[8:9], s[0:1], s11, v9, v[8:9]
	v_mov_b32_e32 v1, v8
	v_lshlrev_b64 v[0:1], 2, v[0:1]
	v_add_co_u32_e64 v0, s[0:1], v2, v0
	v_addc_co_u32_e64 v1, s[0:1], v3, v1, s[0:1]
	global_load_dwordx4 v[8:11], v[0:1], off
	s_waitcnt vmcnt(0)
	v_pk_mul_f32 v[2:3], v[8:9], s[2:3]
	v_pk_mul_f32 v[8:9], v[10:11], s[2:3]
	v_cvt_f16_f32_e32 v10, v3
	v_cvt_f16_f32_e32 v3, v9
	;; [unrolled: 1-line block ×4, first 2 shown]
	v_pack_b32_f16 v3, v8, v3
	v_pack_b32_f16 v2, v2, v10
	ds_write_b64 v6, v[2:3] offset:768
	s_and_saveexec_b64 s[0:1], vcc
	s_cbranch_execz .LBB9_10
; %bb.9:
	global_load_dwordx4 v[0:3], v[0:1], off offset:512
	s_waitcnt vmcnt(0)
	v_pk_mul_f32 v[0:1], v[0:1], s[2:3]
	v_pk_mul_f32 v[2:3], v[2:3], s[2:3]
	v_cvt_f16_f32_e32 v1, v1
	v_cvt_f16_f32_e32 v0, v0
	;; [unrolled: 1-line block ×4, first 2 shown]
	v_pack_b32_f16 v0, v0, v1
	v_pack_b32_f16 v1, v2, v3
	ds_write_b64 v6, v[0:1] offset:1024
.LBB9_10:
	s_or_b64 exec, exec, s[0:1]
	s_cmp_eq_u64 s[22:23], 0
	s_waitcnt lgkmcnt(0)
	s_barrier
	s_cbranch_scc1 .LBB9_12
; %bb.11:
	s_load_dword s0, s[4:5], 0xd0
	s_mov_b32 s1, 0
	s_waitcnt lgkmcnt(0)
	s_mul_i32 s0, s0, s33
	s_add_i32 s0, s0, s6
	s_lshl_b64 s[0:1], s[0:1], 2
	s_add_u32 s0, s22, s0
	s_addc_u32 s1, s23, s1
	s_load_dword s34, s[0:1], 0x0
.LBB9_12:
	s_lshl_b32 s22, s7, 5
	s_waitcnt lgkmcnt(0)
	s_cmp_lt_i32 s22, s34
	v_mbcnt_lo_u32_b32 v20, -1, 0
	s_cbranch_scc1 .LBB9_14
; %bb.13:
	v_mbcnt_hi_u32_b32 v28, -1, v20
	v_and_b32_e32 v0, 0x60, v28
	s_mov_b32 s2, 0
	v_add_u32_e32 v29, 32, v0
	v_xor_b32_e32 v33, 16, v28
	v_xor_b32_e32 v34, 8, v28
	;; [unrolled: 1-line block ×5, first 2 shown]
	s_mov_b64 s[0:1], 0
	s_mov_b32 s3, 0xfeffffff
	s_branch .LBB9_15
.LBB9_14:
	s_mov_b64 s[0:1], -1
                                        ; implicit-def: $sgpr3
                                        ; implicit-def: $sgpr2
                                        ; implicit-def: $vgpr28
                                        ; implicit-def: $vgpr29
                                        ; implicit-def: $vgpr33
                                        ; implicit-def: $vgpr34
                                        ; implicit-def: $vgpr35
                                        ; implicit-def: $vgpr31
                                        ; implicit-def: $vgpr30
.LBB9_15:
	v_lshlrev_b32_e32 v9, 2, v4
	s_andn2_b64 vcc, exec, s[0:1]
	v_mov_b32_e32 v3, s3
	v_mov_b32_e32 v13, s2
	;; [unrolled: 1-line block ×16, first 2 shown]
	s_cbranch_vccnz .LBB9_18
; %bb.16:
	s_sub_i32 s0, 0, s38
	s_mul_i32 s0, s0, s40
	s_mul_hi_u32 s0, s40, s0
	s_add_i32 s40, s40, s0
	s_load_dwordx2 s[10:11], s[4:5], 0x8c
	s_load_dwordx4 s[0:3], s[4:5], 0x98
	s_abs_i32 s6, s35
	s_mul_hi_u32 s8, s6, s40
	s_ashr_i32 s18, s35, 31
	s_waitcnt lgkmcnt(0)
	s_ashr_i32 s28, s10, 2
	s_ashr_i32 s23, s2, 2
	;; [unrolled: 1-line block ×4, first 2 shown]
	s_mul_i32 s1, s33, s1
	s_mul_hi_u32 s10, s33, s0
	s_add_i32 s1, s10, s1
	s_mul_i32 s10, s9, s0
	s_ashr_i32 s19, s39, 31
	s_add_i32 s1, s1, s10
	s_mul_i32 s0, s33, s0
	s_add_u32 s0, s14, s0
	s_mul_i32 s14, s8, s38
	s_addc_u32 s1, s15, s1
	s_sub_i32 s6, s6, s14
	s_xor_b32 s10, s18, s19
	s_add_i32 s14, s8, 1
	s_sub_i32 s15, s6, s38
	s_cmp_ge_u32 s6, s38
	s_cselect_b32 s8, s14, s8
	s_cselect_b32 s6, s15, s6
	s_add_i32 s14, s8, 1
	s_cmp_ge_u32 s6, s38
	s_cselect_b32 s6, s14, s8
	s_load_dwordx2 s[12:13], s[4:5], 0xa8
	s_xor_b32 s6, s6, s10
	s_sub_i32 s6, s6, s10
	s_mul_i32 s8, s6, s11
	s_ashr_i32 s10, s8, 31
	s_add_u32 s0, s0, s8
	s_addc_u32 s1, s1, s10
	s_waitcnt lgkmcnt(0)
	s_mul_i32 s8, s33, s13
	s_mul_hi_u32 s10, s33, s12
	s_add_i32 s8, s10, s8
	s_mul_i32 s9, s9, s12
	v_lshrrev_b32_e32 v0, 3, v4
	s_add_i32 s8, s8, s9
	s_mul_i32 s9, s33, s12
	v_add_u32_e32 v0, v19, v0
	s_add_u32 s9, s16, s9
	s_mul_i32 s6, s6, s3
	v_and_b32_e32 v1, 28, v9
	v_mul_u32_u24_e32 v2, 0x90, v0
	v_mul_lo_u32 v0, s28, v0
	s_addc_u32 s8, s17, s8
	s_ashr_i32 s3, s6, 31
	v_lshlrev_b32_e32 v3, 2, v1
	v_ashrrev_i32_e32 v1, 31, v0
	s_add_u32 s6, s9, s6
	s_movk_i32 s9, 0x3000
	v_lshlrev_b64 v[0:1], 2, v[0:1]
	v_add3_u32 v36, v2, v3, s9
	v_mov_b32_e32 v2, s1
	v_add_co_u32_e32 v0, vcc, s0, v0
	v_addc_co_u32_e32 v1, vcc, v2, v1, vcc
	s_addc_u32 s3, s8, s3
	s_movk_i32 s8, 0x90
	v_add_co_u32_e32 v37, vcc, v0, v3
	v_mov_b32_e32 v0, 0x3000
	v_mad_u32_u24 v39, v4, s8, v0
	v_mov_b32_e32 v0, 0x4200
	v_addc_co_u32_e32 v38, vcc, 0, v1, vcc
	v_lshl_add_u32 v41, v18, 8, v0
	v_lshrrev_b32_e32 v0, 4, v4
	v_and_b32_e32 v1, 60, v9
	v_lshl_add_u32 v0, v18, 1, v0
	v_lshlrev_b32_e32 v3, 2, v1
	v_lshl_or_b32 v1, v0, 8, v3
	v_mul_lo_u32 v0, s23, v0
	v_add_u32_e32 v42, 0x3000, v1
	v_ashrrev_i32_e32 v1, 31, v0
	v_lshlrev_b64 v[0:1], 2, v[0:1]
	v_mov_b32_e32 v6, s3
	v_add_co_u32_e32 v0, vcc, s6, v0
	v_addc_co_u32_e32 v1, vcc, v6, v1, vcc
	v_add_co_u32_e32 v43, vcc, v0, v3
	v_mbcnt_hi_u32_b32 v28, -1, v20
	v_mad_u64_u32 v[16:17], s[0:1], v16, s2, v[4:5]
	v_lshlrev_b32_e32 v2, 3, v4
	v_addc_co_u32_e32 v44, vcc, 0, v1, vcc
	s_add_u32 s18, s4, 0xd0
	v_mov_b32_e32 v0, 0xfeffffff
	v_mov_b32_e32 v10, 0
	v_and_b32_e32 v1, 0x60, v28
	v_mul_u32_u24_e32 v40, 0x600, v18
	s_addc_u32 s19, s5, 0
	v_mov_b32_e32 v15, 0
	v_mov_b32_e32 v6, 0
	;; [unrolled: 1-line block ×3, first 2 shown]
	v_add_u32_e32 v29, 32, v1
	v_xor_b32_e32 v33, 16, v28
	v_xor_b32_e32 v34, 8, v28
	;; [unrolled: 1-line block ×5, first 2 shown]
	s_mov_b32 s6, 0x40051340
	s_mov_b32 s29, 0x3fb8aa3b
	;; [unrolled: 1-line block ×4, first 2 shown]
	v_mov_b32_e32 v46, 0x7f800000
	v_add_u32_e32 v47, v41, v2
	v_add_u32_e32 v48, 0x3000, v2
	;; [unrolled: 1-line block ×3, first 2 shown]
	v_mov_b32_e32 v32, 0
	v_mov_b32_e32 v17, 0
	;; [unrolled: 1-line block ×12, first 2 shown]
.LBB9_17:                               ; =>This Inner Loop Header: Depth=1
	v_cmp_lt_i32_e32 vcc, v33, v29
	v_cndmask_b32_e32 v20, v28, v33, vcc
	v_cmp_lt_i32_e32 vcc, v34, v29
	v_cndmask_b32_e32 v21, v28, v34, vcc
	;; [unrolled: 2-line block ×3, first 2 shown]
	v_cmp_lt_i32_e32 vcc, v31, v29
	s_mul_hi_i32 s1, s22, s28
	s_mul_i32 s0, s22, s28
	v_cndmask_b32_e32 v23, v28, v31, vcc
	v_cmp_lt_i32_e32 vcc, v30, v29
	v_cndmask_b32_e32 v24, v28, v30, vcc
	s_lshl_b64 s[0:1], s[0:1], 2
	v_lshlrev_b32_e32 v57, 2, v21
	v_lshlrev_b32_e32 v54, 2, v24
	v_mov_b32_e32 v21, s1
	v_add_co_u32_e64 v24, s[0:1], s0, v37
	v_addc_co_u32_e64 v25, s[0:1], v38, v21, s[0:1]
	global_load_dwordx4 v[64:67], v[24:25], off
	v_mov_b32_e32 v52, v0
	v_mov_b32_e32 v0, 0
	;; [unrolled: 1-line block ×8, first 2 shown]
	v_add_u32_e32 v18, s22, v16
	v_ashrrev_i32_e32 v19, 31, v18
	v_lshlrev_b64 v[18:19], 1, v[18:19]
	v_lshlrev_b32_e32 v56, 2, v22
	v_add_co_u32_e64 v22, s[0:1], s36, v18
	v_lshlrev_b32_e32 v55, 2, v23
	v_addc_co_u32_e64 v23, s[0:1], v45, v19, s[0:1]
	s_mul_hi_i32 s3, s22, s23
	s_mul_i32 s2, s22, s23
	s_lshl_b64 s[2:3], s[2:3], 2
	v_lshlrev_b32_e32 v58, 2, v20
	v_mov_b32_e32 v63, s3
	v_add_co_u32_e32 v20, vcc, s2, v43
	v_addc_co_u32_e32 v21, vcc, v44, v63, vcc
	v_max_f32_e32 v59, v51, v51
	v_max_f32_e32 v60, v53, v53
	;; [unrolled: 1-line block ×4, first 2 shown]
	s_or_b32 s8, s22, 16
	s_mul_hi_i32 s9, s8, s23
	s_mul_i32 s8, s8, s23
	s_lshl_b64 s[2:3], s[8:9], 2
	v_mov_b32_e32 v19, s3
	v_add_co_u32_e32 v18, vcc, s2, v43
	v_addc_co_u32_e32 v19, vcc, v44, v19, vcc
	s_waitcnt vmcnt(0)
	ds_write_b128 v36, v[64:67]
	s_waitcnt lgkmcnt(0)
	s_barrier
	ds_read_b128 v[64:67], v39
	ds_read_b128 v[68:71], v40
	ds_read_b128 v[72:75], v40 offset:384
	ds_read_b128 v[76:79], v40 offset:768
	ds_read_b128 v[80:83], v40 offset:1152
	s_waitcnt lgkmcnt(3)
	;;#ASMSTART
	v_dot2_f32_f16 v0, v64, v68, v0
	;;#ASMEND
	;;#ASMSTART
	v_dot2_f32_f16 v0, v65, v69, v0
	;;#ASMEND
	;;#ASMSTART
	v_dot2_f32_f16 v0, v66, v70, v0
	;;#ASMEND
	;;#ASMSTART
	v_dot2_f32_f16 v0, v67, v71, v0
	;;#ASMEND
	s_waitcnt lgkmcnt(2)
	;;#ASMSTART
	v_dot2_f32_f16 v1, v64, v72, v1
	;;#ASMEND
	;;#ASMSTART
	v_dot2_f32_f16 v1, v65, v73, v1
	;;#ASMEND
	;;#ASMSTART
	v_dot2_f32_f16 v1, v66, v74, v1
	;;#ASMEND
	;;#ASMSTART
	v_dot2_f32_f16 v1, v67, v75, v1
	;;#ASMEND
	s_waitcnt lgkmcnt(1)
	;;#ASMSTART
	v_dot2_f32_f16 v2, v64, v76, v2
	;;#ASMEND
	;;#ASMSTART
	v_dot2_f32_f16 v2, v65, v77, v2
	;;#ASMEND
	;;#ASMSTART
	v_dot2_f32_f16 v2, v66, v78, v2
	;;#ASMEND
	;;#ASMSTART
	v_dot2_f32_f16 v2, v67, v79, v2
	;;#ASMEND
	s_waitcnt lgkmcnt(0)
	;;#ASMSTART
	v_dot2_f32_f16 v3, v64, v80, v3
	;;#ASMEND
	;;#ASMSTART
	v_dot2_f32_f16 v3, v65, v81, v3
	;;#ASMEND
	;;#ASMSTART
	v_dot2_f32_f16 v3, v66, v82, v3
	;;#ASMEND
	;;#ASMSTART
	v_dot2_f32_f16 v3, v67, v83, v3
	;;#ASMEND
	ds_read_b128 v[64:67], v39 offset:16
	ds_read_b128 v[68:71], v40 offset:16
	ds_read_b128 v[72:75], v40 offset:400
	ds_read_b128 v[76:79], v40 offset:784
	ds_read_b128 v[80:83], v40 offset:1168
	s_waitcnt lgkmcnt(3)
	;;#ASMSTART
	v_dot2_f32_f16 v0, v64, v68, v0
	;;#ASMEND
	;;#ASMSTART
	v_dot2_f32_f16 v0, v65, v69, v0
	;;#ASMEND
	;;#ASMSTART
	v_dot2_f32_f16 v0, v66, v70, v0
	;;#ASMEND
	;;#ASMSTART
	v_dot2_f32_f16 v0, v67, v71, v0
	;;#ASMEND
	s_waitcnt lgkmcnt(2)
	;;#ASMSTART
	v_dot2_f32_f16 v1, v64, v72, v1
	;;#ASMEND
	;;#ASMSTART
	v_dot2_f32_f16 v1, v65, v73, v1
	;;#ASMEND
	;;#ASMSTART
	v_dot2_f32_f16 v1, v66, v74, v1
	;;#ASMEND
	;;#ASMSTART
	v_dot2_f32_f16 v1, v67, v75, v1
	;;#ASMEND
	s_waitcnt lgkmcnt(1)
	;;#ASMSTART
	v_dot2_f32_f16 v2, v64, v76, v2
	;;#ASMEND
	;;#ASMSTART
	v_dot2_f32_f16 v2, v65, v77, v2
	;;#ASMEND
	;;#ASMSTART
	v_dot2_f32_f16 v2, v66, v78, v2
	;;#ASMEND
	;;#ASMSTART
	v_dot2_f32_f16 v2, v67, v79, v2
	;;#ASMEND
	s_waitcnt lgkmcnt(0)
	;;#ASMSTART
	v_dot2_f32_f16 v3, v64, v80, v3
	;;#ASMEND
	;;#ASMSTART
	v_dot2_f32_f16 v3, v65, v81, v3
	;;#ASMEND
	;;#ASMSTART
	v_dot2_f32_f16 v3, v66, v82, v3
	;;#ASMEND
	;;#ASMSTART
	v_dot2_f32_f16 v3, v67, v83, v3
	;;#ASMEND
	ds_read_b128 v[64:67], v39 offset:32
	ds_read_b128 v[68:71], v40 offset:32
	;; [unrolled: 57-line block ×7, first 2 shown]
	ds_read_b128 v[72:75], v40 offset:496
	ds_read_b128 v[76:79], v40 offset:880
	;; [unrolled: 1-line block ×3, first 2 shown]
	s_waitcnt lgkmcnt(3)
	;;#ASMSTART
	v_dot2_f32_f16 v0, v64, v68, v0
	;;#ASMEND
	;;#ASMSTART
	v_dot2_f32_f16 v0, v65, v69, v0
	;;#ASMEND
	;;#ASMSTART
	v_dot2_f32_f16 v0, v66, v70, v0
	;;#ASMEND
	;;#ASMSTART
	v_dot2_f32_f16 v0, v67, v71, v0
	;;#ASMEND
	s_waitcnt lgkmcnt(2)
	;;#ASMSTART
	v_dot2_f32_f16 v1, v64, v72, v1
	;;#ASMEND
	;;#ASMSTART
	v_dot2_f32_f16 v1, v65, v73, v1
	;;#ASMEND
	;;#ASMSTART
	v_dot2_f32_f16 v1, v66, v74, v1
	;;#ASMEND
	;;#ASMSTART
	v_dot2_f32_f16 v1, v67, v75, v1
	;;#ASMEND
	;; [unrolled: 13-line block ×4, first 2 shown]
	s_barrier
	global_load_dwordx4 v[64:67], v[24:25], off offset:128
	s_waitcnt vmcnt(0)
	ds_write_b128 v36, v[64:67]
	s_waitcnt lgkmcnt(0)
	s_barrier
	ds_read_b128 v[64:67], v39
	ds_read_b128 v[68:71], v40 offset:128
	ds_read_b128 v[72:75], v40 offset:512
	ds_read_b128 v[76:79], v40 offset:896
	ds_read_b128 v[80:83], v40 offset:1280
	s_waitcnt lgkmcnt(3)
	;;#ASMSTART
	v_dot2_f32_f16 v0, v64, v68, v0
	;;#ASMEND
	;;#ASMSTART
	v_dot2_f32_f16 v0, v65, v69, v0
	;;#ASMEND
	;;#ASMSTART
	v_dot2_f32_f16 v0, v66, v70, v0
	;;#ASMEND
	;;#ASMSTART
	v_dot2_f32_f16 v0, v67, v71, v0
	;;#ASMEND
	s_waitcnt lgkmcnt(2)
	;;#ASMSTART
	v_dot2_f32_f16 v1, v64, v72, v1
	;;#ASMEND
	;;#ASMSTART
	v_dot2_f32_f16 v1, v65, v73, v1
	;;#ASMEND
	;;#ASMSTART
	v_dot2_f32_f16 v1, v66, v74, v1
	;;#ASMEND
	;;#ASMSTART
	v_dot2_f32_f16 v1, v67, v75, v1
	;;#ASMEND
	s_waitcnt lgkmcnt(1)
	;;#ASMSTART
	v_dot2_f32_f16 v2, v64, v76, v2
	;;#ASMEND
	;;#ASMSTART
	v_dot2_f32_f16 v2, v65, v77, v2
	;;#ASMEND
	;;#ASMSTART
	v_dot2_f32_f16 v2, v66, v78, v2
	;;#ASMEND
	;;#ASMSTART
	v_dot2_f32_f16 v2, v67, v79, v2
	;;#ASMEND
	s_waitcnt lgkmcnt(0)
	;;#ASMSTART
	v_dot2_f32_f16 v3, v64, v80, v3
	;;#ASMEND
	;;#ASMSTART
	v_dot2_f32_f16 v3, v65, v81, v3
	;;#ASMEND
	;;#ASMSTART
	v_dot2_f32_f16 v3, v66, v82, v3
	;;#ASMEND
	;;#ASMSTART
	v_dot2_f32_f16 v3, v67, v83, v3
	;;#ASMEND
	ds_read_b128 v[64:67], v39 offset:16
	ds_read_b128 v[68:71], v40 offset:144
	ds_read_b128 v[72:75], v40 offset:528
	ds_read_b128 v[76:79], v40 offset:912
	ds_read_b128 v[80:83], v40 offset:1296
	s_waitcnt lgkmcnt(3)
	;;#ASMSTART
	v_dot2_f32_f16 v0, v64, v68, v0
	;;#ASMEND
	;;#ASMSTART
	v_dot2_f32_f16 v0, v65, v69, v0
	;;#ASMEND
	;;#ASMSTART
	v_dot2_f32_f16 v0, v66, v70, v0
	;;#ASMEND
	;;#ASMSTART
	v_dot2_f32_f16 v0, v67, v71, v0
	;;#ASMEND
	s_waitcnt lgkmcnt(2)
	;;#ASMSTART
	v_dot2_f32_f16 v1, v64, v72, v1
	;;#ASMEND
	;;#ASMSTART
	v_dot2_f32_f16 v1, v65, v73, v1
	;;#ASMEND
	;;#ASMSTART
	v_dot2_f32_f16 v1, v66, v74, v1
	;;#ASMEND
	;;#ASMSTART
	v_dot2_f32_f16 v1, v67, v75, v1
	;;#ASMEND
	s_waitcnt lgkmcnt(1)
	;;#ASMSTART
	v_dot2_f32_f16 v2, v64, v76, v2
	;;#ASMEND
	;;#ASMSTART
	v_dot2_f32_f16 v2, v65, v77, v2
	;;#ASMEND
	;;#ASMSTART
	v_dot2_f32_f16 v2, v66, v78, v2
	;;#ASMEND
	;;#ASMSTART
	v_dot2_f32_f16 v2, v67, v79, v2
	;;#ASMEND
	s_waitcnt lgkmcnt(0)
	;;#ASMSTART
	v_dot2_f32_f16 v3, v64, v80, v3
	;;#ASMEND
	;;#ASMSTART
	v_dot2_f32_f16 v3, v65, v81, v3
	;;#ASMEND
	;;#ASMSTART
	v_dot2_f32_f16 v3, v66, v82, v3
	;;#ASMEND
	;;#ASMSTART
	v_dot2_f32_f16 v3, v67, v83, v3
	;;#ASMEND
	ds_read_b128 v[64:67], v39 offset:32
	;; [unrolled: 57-line block ×7, first 2 shown]
	ds_read_b128 v[68:71], v40 offset:240
	ds_read_b128 v[72:75], v40 offset:624
	;; [unrolled: 1-line block ×4, first 2 shown]
	s_waitcnt lgkmcnt(3)
	;;#ASMSTART
	v_dot2_f32_f16 v0, v64, v68, v0
	;;#ASMEND
	;;#ASMSTART
	v_dot2_f32_f16 v0, v65, v69, v0
	;;#ASMEND
	;;#ASMSTART
	v_dot2_f32_f16 v0, v66, v70, v0
	;;#ASMEND
	;;#ASMSTART
	v_dot2_f32_f16 v0, v67, v71, v0
	;;#ASMEND
	s_waitcnt lgkmcnt(2)
	;;#ASMSTART
	v_dot2_f32_f16 v1, v64, v72, v1
	;;#ASMEND
	;;#ASMSTART
	v_dot2_f32_f16 v1, v65, v73, v1
	;;#ASMEND
	;;#ASMSTART
	v_dot2_f32_f16 v1, v66, v74, v1
	;;#ASMEND
	;;#ASMSTART
	v_dot2_f32_f16 v1, v67, v75, v1
	;;#ASMEND
	s_waitcnt lgkmcnt(1)
	;;#ASMSTART
	v_dot2_f32_f16 v2, v64, v76, v2
	;;#ASMEND
	;;#ASMSTART
	v_dot2_f32_f16 v2, v65, v77, v2
	;;#ASMEND
	;;#ASMSTART
	v_dot2_f32_f16 v2, v66, v78, v2
	;;#ASMEND
	;;#ASMSTART
	v_dot2_f32_f16 v2, v67, v79, v2
	;;#ASMEND
	s_waitcnt lgkmcnt(0)
	;;#ASMSTART
	v_dot2_f32_f16 v3, v64, v80, v3
	;;#ASMEND
	;;#ASMSTART
	v_dot2_f32_f16 v3, v65, v81, v3
	;;#ASMEND
	;;#ASMSTART
	v_dot2_f32_f16 v3, v66, v82, v3
	;;#ASMEND
	;;#ASMSTART
	v_dot2_f32_f16 v3, v67, v83, v3
	;;#ASMEND
	s_barrier
	global_load_dwordx4 v[64:67], v[24:25], off offset:256
	s_waitcnt vmcnt(0)
	ds_write_b128 v36, v[64:67]
	s_waitcnt lgkmcnt(0)
	s_barrier
	ds_read_b128 v[64:67], v39
	ds_read_b128 v[68:71], v40 offset:256
	ds_read_b128 v[72:75], v40 offset:640
	ds_read_b128 v[76:79], v40 offset:1024
	ds_read_b128 v[80:83], v40 offset:1408
	s_waitcnt lgkmcnt(3)
	;;#ASMSTART
	v_dot2_f32_f16 v0, v64, v68, v0
	;;#ASMEND
	;;#ASMSTART
	v_dot2_f32_f16 v0, v65, v69, v0
	;;#ASMEND
	;;#ASMSTART
	v_dot2_f32_f16 v0, v66, v70, v0
	;;#ASMEND
	;;#ASMSTART
	v_dot2_f32_f16 v0, v67, v71, v0
	;;#ASMEND
	s_waitcnt lgkmcnt(2)
	;;#ASMSTART
	v_dot2_f32_f16 v1, v64, v72, v1
	;;#ASMEND
	;;#ASMSTART
	v_dot2_f32_f16 v1, v65, v73, v1
	;;#ASMEND
	;;#ASMSTART
	v_dot2_f32_f16 v1, v66, v74, v1
	;;#ASMEND
	;;#ASMSTART
	v_dot2_f32_f16 v1, v67, v75, v1
	;;#ASMEND
	s_waitcnt lgkmcnt(1)
	;;#ASMSTART
	v_dot2_f32_f16 v2, v64, v76, v2
	;;#ASMEND
	;;#ASMSTART
	v_dot2_f32_f16 v2, v65, v77, v2
	;;#ASMEND
	;;#ASMSTART
	v_dot2_f32_f16 v2, v66, v78, v2
	;;#ASMEND
	;;#ASMSTART
	v_dot2_f32_f16 v2, v67, v79, v2
	;;#ASMEND
	s_waitcnt lgkmcnt(0)
	;;#ASMSTART
	v_dot2_f32_f16 v3, v64, v80, v3
	;;#ASMEND
	;;#ASMSTART
	v_dot2_f32_f16 v3, v65, v81, v3
	;;#ASMEND
	;;#ASMSTART
	v_dot2_f32_f16 v3, v66, v82, v3
	;;#ASMEND
	;;#ASMSTART
	v_dot2_f32_f16 v3, v67, v83, v3
	;;#ASMEND
	ds_read_b128 v[64:67], v39 offset:16
	ds_read_b128 v[68:71], v40 offset:272
	ds_read_b128 v[72:75], v40 offset:656
	ds_read_b128 v[76:79], v40 offset:1040
	ds_read_b128 v[80:83], v40 offset:1424
	s_waitcnt lgkmcnt(3)
	;;#ASMSTART
	v_dot2_f32_f16 v0, v64, v68, v0
	;;#ASMEND
	;;#ASMSTART
	v_dot2_f32_f16 v0, v65, v69, v0
	;;#ASMEND
	;;#ASMSTART
	v_dot2_f32_f16 v0, v66, v70, v0
	;;#ASMEND
	;;#ASMSTART
	v_dot2_f32_f16 v0, v67, v71, v0
	;;#ASMEND
	s_waitcnt lgkmcnt(2)
	;;#ASMSTART
	v_dot2_f32_f16 v1, v64, v72, v1
	;;#ASMEND
	;;#ASMSTART
	v_dot2_f32_f16 v1, v65, v73, v1
	;;#ASMEND
	;;#ASMSTART
	v_dot2_f32_f16 v1, v66, v74, v1
	;;#ASMEND
	;;#ASMSTART
	v_dot2_f32_f16 v1, v67, v75, v1
	;;#ASMEND
	s_waitcnt lgkmcnt(1)
	;;#ASMSTART
	v_dot2_f32_f16 v2, v64, v76, v2
	;;#ASMEND
	;;#ASMSTART
	v_dot2_f32_f16 v2, v65, v77, v2
	;;#ASMEND
	;;#ASMSTART
	v_dot2_f32_f16 v2, v66, v78, v2
	;;#ASMEND
	;;#ASMSTART
	v_dot2_f32_f16 v2, v67, v79, v2
	;;#ASMEND
	s_waitcnt lgkmcnt(0)
	;;#ASMSTART
	v_dot2_f32_f16 v3, v64, v80, v3
	;;#ASMEND
	;;#ASMSTART
	v_dot2_f32_f16 v3, v65, v81, v3
	;;#ASMEND
	;;#ASMSTART
	v_dot2_f32_f16 v3, v66, v82, v3
	;;#ASMEND
	;;#ASMSTART
	v_dot2_f32_f16 v3, v67, v83, v3
	;;#ASMEND
	ds_read_b128 v[64:67], v39 offset:32
	;; [unrolled: 57-line block ×7, first 2 shown]
	ds_read_b128 v[68:71], v40 offset:368
	ds_read_b128 v[72:75], v40 offset:752
	ds_read_b128 v[76:79], v40 offset:1136
	ds_read_b128 v[80:83], v40 offset:1520
	s_waitcnt lgkmcnt(3)
	;;#ASMSTART
	v_dot2_f32_f16 v0, v64, v68, v0
	;;#ASMEND
	;;#ASMSTART
	v_dot2_f32_f16 v0, v65, v69, v0
	;;#ASMEND
	;;#ASMSTART
	v_dot2_f32_f16 v0, v66, v70, v0
	;;#ASMEND
	;;#ASMSTART
	v_dot2_f32_f16 v0, v67, v71, v0
	;;#ASMEND
	s_waitcnt lgkmcnt(2)
	;;#ASMSTART
	v_dot2_f32_f16 v1, v64, v72, v1
	;;#ASMEND
	;;#ASMSTART
	v_dot2_f32_f16 v1, v65, v73, v1
	;;#ASMEND
	;;#ASMSTART
	v_dot2_f32_f16 v1, v66, v74, v1
	;;#ASMEND
	;;#ASMSTART
	v_dot2_f32_f16 v1, v67, v75, v1
	;;#ASMEND
	;; [unrolled: 13-line block ×4, first 2 shown]
	flat_load_ushort v24, v[22:23]
	s_waitcnt lgkmcnt(0)
	s_barrier
	global_load_dwordx4 v[20:23], v[20:21], off
	s_waitcnt vmcnt(0)
	v_cvt_f32_f16_e32 v24, v24
	v_pk_add_f32 v[64:65], v[2:3], v[24:25] op_sel_hi:[1,0]
	v_pk_add_f32 v[24:25], v[0:1], v[24:25] op_sel_hi:[1,0]
	;; [unrolled: 1-line block ×4, first 2 shown]
	v_max_f32_e32 v3, v59, v3
	v_max_f32_e32 v2, v60, v2
	v_max_f32_e32 v1, v61, v1
	v_max_f32_e32 v0, v62, v0
	ds_bpermute_b32 v59, v58, v3
	ds_bpermute_b32 v60, v58, v2
	ds_bpermute_b32 v61, v58, v1
	ds_bpermute_b32 v58, v58, v0
	s_waitcnt lgkmcnt(3)
	v_max_f32_e32 v59, v59, v59
	s_waitcnt lgkmcnt(2)
	v_max_f32_e32 v60, v60, v60
	s_waitcnt lgkmcnt(1)
	v_max_f32_e32 v61, v61, v61
	s_waitcnt lgkmcnt(0)
	v_max_f32_e32 v58, v58, v58
	v_max_f32_e32 v3, v3, v59
	v_max_f32_e32 v2, v2, v60
	v_max_f32_e32 v1, v1, v61
	v_max_f32_e32 v0, v0, v58
	ds_bpermute_b32 v58, v57, v3
	ds_bpermute_b32 v59, v57, v2
	ds_bpermute_b32 v60, v57, v1
	ds_bpermute_b32 v57, v57, v0
	s_waitcnt lgkmcnt(3)
	v_max_f32_e32 v58, v58, v58
	s_waitcnt lgkmcnt(2)
	v_max_f32_e32 v59, v59, v59
	s_waitcnt lgkmcnt(1)
	v_max_f32_e32 v60, v60, v60
	s_waitcnt lgkmcnt(0)
	v_max_f32_e32 v57, v57, v57
	v_max_f32_e32 v3, v3, v58
	v_max_f32_e32 v2, v2, v59
	v_max_f32_e32 v1, v1, v60
	v_max_f32_e32 v0, v0, v57
	ds_bpermute_b32 v57, v56, v3
	ds_bpermute_b32 v58, v56, v2
	ds_bpermute_b32 v59, v56, v1
	ds_bpermute_b32 v56, v56, v0
	s_waitcnt lgkmcnt(3)
	v_max_f32_e32 v57, v57, v57
	s_waitcnt lgkmcnt(2)
	v_max_f32_e32 v58, v58, v58
	s_waitcnt lgkmcnt(1)
	v_max_f32_e32 v59, v59, v59
	s_waitcnt lgkmcnt(0)
	v_max_f32_e32 v56, v56, v56
	v_max_f32_e32 v3, v3, v57
	v_max_f32_e32 v2, v2, v58
	v_max_f32_e32 v1, v1, v59
	v_max_f32_e32 v0, v0, v56
	ds_bpermute_b32 v56, v55, v3
	ds_bpermute_b32 v57, v55, v2
	ds_bpermute_b32 v58, v55, v1
	ds_bpermute_b32 v55, v55, v0
	s_waitcnt lgkmcnt(3)
	v_max_f32_e32 v56, v56, v56
	s_waitcnt lgkmcnt(2)
	v_max_f32_e32 v57, v57, v57
	s_waitcnt lgkmcnt(1)
	v_max_f32_e32 v58, v58, v58
	s_waitcnt lgkmcnt(0)
	v_max_f32_e32 v55, v55, v55
	v_max_f32_e32 v3, v3, v56
	v_max_f32_e32 v2, v2, v57
	v_max_f32_e32 v1, v1, v58
	v_max_f32_e32 v0, v0, v55
	ds_bpermute_b32 v55, v54, v0
	ds_bpermute_b32 v56, v54, v1
	ds_bpermute_b32 v57, v54, v2
	ds_bpermute_b32 v54, v54, v3
	s_waitcnt lgkmcnt(3)
	v_max_f32_e32 v55, v55, v55
	s_waitcnt lgkmcnt(2)
	v_max_f32_e32 v56, v56, v56
	s_waitcnt lgkmcnt(1)
	v_max_f32_e32 v57, v57, v57
	s_waitcnt lgkmcnt(0)
	v_max_f32_e32 v54, v54, v54
	v_max_f32_e32 v0, v0, v55
	v_max_f32_e32 v1, v1, v56
	;; [unrolled: 1-line block ×4, first 2 shown]
	v_sub_f32_e32 v54, v65, v3
	v_sub_f32_e32 v55, v64, v2
	;; [unrolled: 1-line block ×8, first 2 shown]
	v_mul_f32_e32 v56, 0x3fb8aa3b, v24
	v_mul_f32_e32 v57, 0x3fb8aa3b, v25
	;; [unrolled: 1-line block ×8, first 2 shown]
	v_fma_f32 v64, v24, s29, -v56
	v_rndne_f32_e32 v65, v56
	v_fma_f32 v66, v25, s29, -v57
	v_rndne_f32_e32 v67, v57
	;; [unrolled: 2-line block ×8, first 2 shown]
	v_fmac_f32_e32 v64, 0x32a5705f, v24
	v_sub_f32_e32 v56, v56, v65
	v_fmac_f32_e32 v66, 0x32a5705f, v25
	v_sub_f32_e32 v57, v57, v67
	;; [unrolled: 2-line block ×8, first 2 shown]
	v_add_f32_e32 v56, v56, v64
	v_add_f32_e32 v57, v57, v66
	;; [unrolled: 1-line block ×4, first 2 shown]
	v_cvt_i32_f32_e32 v65, v65
	v_cvt_i32_f32_e32 v67, v67
	;; [unrolled: 1-line block ×4, first 2 shown]
	v_add_f32_e32 v60, v60, v72
	v_add_f32_e32 v61, v61, v74
	;; [unrolled: 1-line block ×4, first 2 shown]
	v_exp_f32_e32 v56, v56
	v_exp_f32_e32 v57, v57
	;; [unrolled: 1-line block ×4, first 2 shown]
	v_cvt_i32_f32_e32 v73, v73
	v_cvt_i32_f32_e32 v75, v75
	;; [unrolled: 1-line block ×4, first 2 shown]
	v_exp_f32_e32 v60, v60
	v_exp_f32_e32 v61, v61
	;; [unrolled: 1-line block ×4, first 2 shown]
	v_ldexp_f32 v56, v56, v65
	v_ldexp_f32 v57, v57, v67
	v_cmp_ngt_f32_e32 vcc, s37, v25
	v_ldexp_f32 v58, v58, v69
	v_cmp_ngt_f32_e64 s[0:1], s37, v55
	v_ldexp_f32 v59, v59, v71
	v_cmp_ngt_f32_e64 s[2:3], s37, v54
	v_cmp_ngt_f32_e64 s[16:17], s37, v24
	v_ldexp_f32 v60, v60, v73
	v_cmp_ngt_f32_e64 s[8:9], s37, v50
	v_ldexp_f32 v61, v61, v75
	;; [unrolled: 2-line block ×4, first 2 shown]
	v_cmp_ngt_f32_e64 s[14:15], s37, v53
	v_cndmask_b32_e64 v56, 0, v56, s[16:17]
	v_cndmask_b32_e32 v57, 0, v57, vcc
	v_cmp_nlt_f32_e32 vcc, s38, v25
	v_cndmask_b32_e64 v58, 0, v58, s[0:1]
	v_cmp_nlt_f32_e64 s[0:1], s38, v55
	v_cndmask_b32_e64 v55, 0, v59, s[2:3]
	v_cmp_nlt_f32_e64 s[2:3], s38, v54
	v_cmp_nlt_f32_e64 s[16:17], s38, v24
	v_cndmask_b32_e64 v54, 0, v60, s[8:9]
	v_cmp_nlt_f32_e64 s[8:9], s38, v50
	v_cndmask_b32_e64 v59, 0, v61, s[10:11]
	;; [unrolled: 2-line block ×5, first 2 shown]
	v_cndmask_b32_e32 v25, v46, v57, vcc
	v_cndmask_b32_e64 v50, v46, v58, s[0:1]
	v_cndmask_b32_e64 v51, v46, v55, s[2:3]
	;; [unrolled: 1-line block ×6, first 2 shown]
	v_cvt_f16_f32_e32 v56, v51
	v_cvt_f16_f32_e32 v57, v50
	;; [unrolled: 1-line block ×4, first 2 shown]
	v_pk_fma_f32 v[12:13], v[12:13], v[54:55], v[50:51]
	v_cvt_f16_f32_e32 v50, v55
	v_pk_fma_f32 v[10:11], v[10:11], v[52:53], v[24:25]
	v_pack_b32_f16 v25, v57, v56
	v_pack_b32_f16 v24, v59, v58
	v_cvt_f16_f32_e32 v114, v52
	v_cvt_f16_f32_e32 v115, v53
	;; [unrolled: 1-line block ×3, first 2 shown]
	v_pk_mul_f16 v17, v50, v17 op_sel_hi:[0,1]
	v_pk_mul_f16 v15, v50, v15 op_sel_hi:[0,1]
	ds_write_b64 v47, v[24:25]
	ds_write_b128 v42, v[20:23]
	s_waitcnt lgkmcnt(0)
	s_barrier
	ds_read2_b64 v[20:23], v48 offset1:32
	ds_read_b128 v[50:53], v41
	ds_read_b128 v[54:57], v41 offset:16
	ds_read_b128 v[58:61], v41 offset:32
	;; [unrolled: 1-line block ×3, first 2 shown]
	ds_read2_b64 v[66:69], v48 offset0:64 offset1:96
	ds_read2_b64 v[70:73], v48 offset0:128 offset1:160
	;; [unrolled: 1-line block ×3, first 2 shown]
	ds_read2_b64 v[78:81], v49 offset1:32
	ds_read2_b64 v[82:85], v49 offset0:64 offset1:96
	ds_read_b128 v[86:89], v41 offset:64
	ds_read_b128 v[90:93], v41 offset:80
	ds_read2_b64 v[94:97], v49 offset0:128 offset1:160
	ds_read2_b64 v[98:101], v49 offset0:192 offset1:224
	ds_read_b128 v[102:105], v41 offset:96
	ds_read_b128 v[106:109], v41 offset:112
	s_waitcnt lgkmcnt(0)
	s_barrier
	global_load_dwordx4 v[110:113], v[18:19], off
	v_pk_mul_f16 v14, v114, v14 op_sel_hi:[0,1]
	v_pk_mul_f16 v8, v115, v8 op_sel_hi:[0,1]
	;; [unrolled: 1-line block ×4, first 2 shown]
	v_pk_mul_f16 v19, v20, v50 op_sel:[0,1]
	v_pk_mul_f16 v24, v20, v51 op_sel_hi:[1,0]
	v_pk_fma_f16 v17, v20, v51, v17 op_sel:[0,1,0]
	v_pk_fma_f16 v14, v21, v50, v14 op_sel_hi:[1,0,1]
	v_pk_fma_f16 v8, v21, v50, v8 op_sel:[0,1,0]
	v_pk_fma_f16 v6, v21, v51, v6 op_sel_hi:[1,0,1]
	;; [unrolled: 2-line block ×3, first 2 shown]
	v_pk_fma_f16 v19, v115, v27, v19 op_sel_hi:[0,1,1]
	v_pk_fma_f16 v20, v116, v26, v24 op_sel_hi:[0,1,1]
	v_pk_fma_f16 v17, v22, v53, v17 op_sel:[0,1,0]
	v_pk_fma_f16 v14, v23, v52, v14 op_sel_hi:[1,0,1]
	v_pk_fma_f16 v8, v23, v52, v8 op_sel:[0,1,0]
	v_pk_fma_f16 v6, v23, v53, v6 op_sel_hi:[1,0,1]
	v_pk_fma_f16 v15, v23, v53, v15 op_sel:[0,1,0]
	v_pk_fma_f16 v18, v22, v52, v18 op_sel_hi:[1,0,1]
	v_pk_fma_f16 v19, v22, v52, v19 op_sel:[0,1,0]
	v_pk_fma_f16 v20, v22, v53, v20 op_sel_hi:[1,0,1]
	v_pk_fma_f16 v17, v66, v55, v17 op_sel:[0,1,0]
	v_pk_fma_f16 v14, v67, v54, v14 op_sel_hi:[1,0,1]
	v_pk_fma_f16 v8, v67, v54, v8 op_sel:[0,1,0]
	v_pk_fma_f16 v6, v67, v55, v6 op_sel_hi:[1,0,1]
	v_pk_fma_f16 v15, v67, v55, v15 op_sel:[0,1,0]
	v_pk_fma_f16 v18, v66, v54, v18 op_sel_hi:[1,0,1]
	v_pk_fma_f16 v19, v66, v54, v19 op_sel:[0,1,0]
	v_pk_fma_f16 v20, v66, v55, v20 op_sel_hi:[1,0,1]
	v_pk_fma_f16 v17, v68, v57, v17 op_sel:[0,1,0]
	v_pk_fma_f16 v14, v69, v56, v14 op_sel_hi:[1,0,1]
	v_pk_fma_f16 v8, v69, v56, v8 op_sel:[0,1,0]
	v_pk_fma_f16 v6, v69, v57, v6 op_sel_hi:[1,0,1]
	v_pk_fma_f16 v15, v69, v57, v15 op_sel:[0,1,0]
	v_pk_fma_f16 v18, v68, v56, v18 op_sel_hi:[1,0,1]
	v_pk_fma_f16 v19, v68, v56, v19 op_sel:[0,1,0]
	v_pk_fma_f16 v20, v68, v57, v20 op_sel_hi:[1,0,1]
	v_pk_fma_f16 v17, v70, v59, v17 op_sel:[0,1,0]
	v_pk_fma_f16 v14, v71, v58, v14 op_sel_hi:[1,0,1]
	v_pk_fma_f16 v8, v71, v58, v8 op_sel:[0,1,0]
	v_pk_fma_f16 v6, v71, v59, v6 op_sel_hi:[1,0,1]
	v_pk_fma_f16 v15, v71, v59, v15 op_sel:[0,1,0]
	v_pk_fma_f16 v18, v70, v58, v18 op_sel_hi:[1,0,1]
	v_pk_fma_f16 v19, v70, v58, v19 op_sel:[0,1,0]
	v_pk_fma_f16 v20, v70, v59, v20 op_sel_hi:[1,0,1]
	v_pk_fma_f16 v17, v72, v61, v17 op_sel:[0,1,0]
	v_pk_fma_f16 v14, v73, v60, v14 op_sel_hi:[1,0,1]
	v_pk_fma_f16 v8, v73, v60, v8 op_sel:[0,1,0]
	v_pk_fma_f16 v6, v73, v61, v6 op_sel_hi:[1,0,1]
	v_pk_fma_f16 v15, v73, v61, v15 op_sel:[0,1,0]
	v_pk_fma_f16 v18, v72, v60, v18 op_sel_hi:[1,0,1]
	v_pk_fma_f16 v19, v72, v60, v19 op_sel:[0,1,0]
	v_pk_fma_f16 v20, v72, v61, v20 op_sel_hi:[1,0,1]
	v_pk_fma_f16 v17, v74, v63, v17 op_sel:[0,1,0]
	v_pk_fma_f16 v14, v75, v62, v14 op_sel_hi:[1,0,1]
	v_pk_fma_f16 v8, v75, v62, v8 op_sel:[0,1,0]
	v_pk_fma_f16 v6, v75, v63, v6 op_sel_hi:[1,0,1]
	v_pk_fma_f16 v15, v75, v63, v15 op_sel:[0,1,0]
	v_pk_fma_f16 v18, v74, v62, v18 op_sel_hi:[1,0,1]
	v_pk_fma_f16 v19, v74, v62, v19 op_sel:[0,1,0]
	v_pk_fma_f16 v20, v74, v63, v20 op_sel_hi:[1,0,1]
	v_pk_fma_f16 v17, v76, v65, v17 op_sel:[0,1,0]
	v_pk_fma_f16 v14, v77, v64, v14 op_sel_hi:[1,0,1]
	v_pk_fma_f16 v8, v77, v64, v8 op_sel:[0,1,0]
	v_pk_fma_f16 v6, v77, v65, v6 op_sel_hi:[1,0,1]
	v_pk_fma_f16 v15, v77, v65, v15 op_sel:[0,1,0]
	v_pk_fma_f16 v18, v76, v64, v18 op_sel_hi:[1,0,1]
	v_pk_fma_f16 v19, v76, v64, v19 op_sel:[0,1,0]
	v_pk_fma_f16 v20, v76, v65, v20 op_sel_hi:[1,0,1]
	v_pk_fma_f16 v17, v78, v87, v17 op_sel:[0,1,0]
	v_pk_fma_f16 v14, v79, v86, v14 op_sel_hi:[1,0,1]
	v_pk_fma_f16 v8, v79, v86, v8 op_sel:[0,1,0]
	v_pk_fma_f16 v6, v79, v87, v6 op_sel_hi:[1,0,1]
	v_pk_fma_f16 v15, v79, v87, v15 op_sel:[0,1,0]
	v_pk_fma_f16 v18, v78, v86, v18 op_sel_hi:[1,0,1]
	v_pk_fma_f16 v19, v78, v86, v19 op_sel:[0,1,0]
	v_pk_fma_f16 v20, v78, v87, v20 op_sel_hi:[1,0,1]
	v_pk_fma_f16 v17, v80, v89, v17 op_sel:[0,1,0]
	v_pk_fma_f16 v14, v81, v88, v14 op_sel_hi:[1,0,1]
	v_pk_fma_f16 v8, v81, v88, v8 op_sel:[0,1,0]
	v_pk_fma_f16 v6, v81, v89, v6 op_sel_hi:[1,0,1]
	v_pk_fma_f16 v15, v81, v89, v15 op_sel:[0,1,0]
	v_pk_fma_f16 v18, v80, v88, v18 op_sel_hi:[1,0,1]
	v_pk_fma_f16 v19, v80, v88, v19 op_sel:[0,1,0]
	v_pk_fma_f16 v20, v80, v89, v20 op_sel_hi:[1,0,1]
	v_pk_fma_f16 v17, v82, v91, v17 op_sel:[0,1,0]
	v_pk_fma_f16 v14, v83, v90, v14 op_sel_hi:[1,0,1]
	v_pk_fma_f16 v8, v83, v90, v8 op_sel:[0,1,0]
	v_pk_fma_f16 v6, v83, v91, v6 op_sel_hi:[1,0,1]
	v_pk_fma_f16 v15, v83, v91, v15 op_sel:[0,1,0]
	v_pk_fma_f16 v18, v82, v90, v18 op_sel_hi:[1,0,1]
	v_pk_fma_f16 v19, v82, v90, v19 op_sel:[0,1,0]
	v_pk_fma_f16 v20, v82, v91, v20 op_sel_hi:[1,0,1]
	v_pk_fma_f16 v17, v84, v93, v17 op_sel:[0,1,0]
	v_pk_fma_f16 v14, v85, v92, v14 op_sel_hi:[1,0,1]
	v_pk_fma_f16 v8, v85, v92, v8 op_sel:[0,1,0]
	v_pk_fma_f16 v6, v85, v93, v6 op_sel_hi:[1,0,1]
	v_pk_fma_f16 v15, v85, v93, v15 op_sel:[0,1,0]
	v_pk_fma_f16 v18, v84, v92, v18 op_sel_hi:[1,0,1]
	v_pk_fma_f16 v19, v84, v92, v19 op_sel:[0,1,0]
	v_pk_fma_f16 v20, v84, v93, v20 op_sel_hi:[1,0,1]
	v_pk_fma_f16 v17, v94, v103, v17 op_sel:[0,1,0]
	v_pk_fma_f16 v14, v95, v102, v14 op_sel_hi:[1,0,1]
	v_pk_fma_f16 v8, v95, v102, v8 op_sel:[0,1,0]
	v_pk_fma_f16 v6, v95, v103, v6 op_sel_hi:[1,0,1]
	v_pk_fma_f16 v15, v95, v103, v15 op_sel:[0,1,0]
	v_pk_fma_f16 v18, v94, v102, v18 op_sel_hi:[1,0,1]
	v_pk_fma_f16 v19, v94, v102, v19 op_sel:[0,1,0]
	v_pk_fma_f16 v20, v94, v103, v20 op_sel_hi:[1,0,1]
	v_pk_fma_f16 v17, v96, v105, v17 op_sel:[0,1,0]
	v_pk_fma_f16 v14, v97, v104, v14 op_sel_hi:[1,0,1]
	v_pk_fma_f16 v8, v97, v104, v8 op_sel:[0,1,0]
	v_pk_fma_f16 v6, v97, v105, v6 op_sel_hi:[1,0,1]
	v_pk_fma_f16 v15, v97, v105, v15 op_sel:[0,1,0]
	v_pk_fma_f16 v18, v96, v104, v18 op_sel_hi:[1,0,1]
	v_pk_fma_f16 v19, v96, v104, v19 op_sel:[0,1,0]
	v_pk_fma_f16 v20, v96, v105, v20 op_sel_hi:[1,0,1]
	v_pk_fma_f16 v17, v98, v107, v17 op_sel:[0,1,0]
	v_pk_fma_f16 v14, v99, v106, v14 op_sel_hi:[1,0,1]
	v_pk_fma_f16 v8, v99, v106, v8 op_sel:[0,1,0]
	v_pk_fma_f16 v6, v99, v107, v6 op_sel_hi:[1,0,1]
	v_pk_fma_f16 v15, v99, v107, v15 op_sel:[0,1,0]
	v_pk_fma_f16 v18, v98, v106, v18 op_sel_hi:[1,0,1]
	v_pk_fma_f16 v19, v98, v106, v19 op_sel:[0,1,0]
	v_pk_fma_f16 v20, v98, v107, v20 op_sel_hi:[1,0,1]
	v_pk_fma_f16 v17, v100, v109, v17 op_sel:[0,1,0]
	v_pk_fma_f16 v14, v101, v108, v14 op_sel_hi:[1,0,1]
	v_pk_fma_f16 v8, v101, v108, v8 op_sel:[0,1,0]
	v_pk_fma_f16 v6, v101, v109, v6 op_sel_hi:[1,0,1]
	v_pk_fma_f16 v15, v101, v109, v15 op_sel:[0,1,0]
	v_pk_fma_f16 v26, v100, v108, v18 op_sel_hi:[1,0,1]
	v_pk_fma_f16 v27, v100, v108, v19 op_sel:[0,1,0]
	v_pk_fma_f16 v32, v100, v109, v20 op_sel_hi:[1,0,1]
	s_waitcnt vmcnt(0)
	ds_write_b128 v42, v[110:113]
	s_waitcnt lgkmcnt(0)
	s_barrier
	ds_read2_b64 v[18:21], v48 offset1:32
	ds_read_b128 v[22:25], v41 offset:128
	ds_read_b128 v[50:53], v41 offset:144
	;; [unrolled: 1-line block ×4, first 2 shown]
	ds_read2_b64 v[62:65], v48 offset0:64 offset1:96
	ds_read2_b64 v[66:69], v48 offset0:128 offset1:160
	;; [unrolled: 1-line block ×3, first 2 shown]
	ds_read2_b64 v[74:77], v49 offset1:32
	ds_read2_b64 v[78:81], v49 offset0:64 offset1:96
	ds_read_b128 v[82:85], v41 offset:192
	ds_read_b128 v[86:89], v41 offset:208
	ds_read2_b64 v[90:93], v49 offset0:128 offset1:160
	ds_read2_b64 v[94:97], v49 offset0:192 offset1:224
	ds_read_b128 v[98:101], v41 offset:224
	ds_read_b128 v[102:105], v41 offset:240
	s_waitcnt lgkmcnt(14)
	v_pk_fma_f16 v26, v18, v22, v26 op_sel_hi:[1,0,1]
	v_pk_fma_f16 v27, v18, v22, v27 op_sel:[0,1,0]
	v_pk_fma_f16 v32, v18, v23, v32 op_sel_hi:[1,0,1]
	v_pk_fma_f16 v17, v18, v23, v17 op_sel:[0,1,0]
	v_pk_fma_f16 v14, v19, v22, v14 op_sel_hi:[1,0,1]
	v_pk_fma_f16 v8, v19, v22, v8 op_sel:[0,1,0]
	v_pk_fma_f16 v6, v19, v23, v6 op_sel_hi:[1,0,1]
	v_pk_fma_f16 v15, v19, v23, v15 op_sel:[0,1,0]
	v_pk_fma_f16 v18, v20, v24, v26 op_sel_hi:[1,0,1]
	v_pk_fma_f16 v19, v20, v24, v27 op_sel:[0,1,0]
	v_pk_fma_f16 v22, v20, v25, v32 op_sel_hi:[1,0,1]
	v_pk_fma_f16 v17, v20, v25, v17 op_sel:[0,1,0]
	v_pk_fma_f16 v14, v21, v24, v14 op_sel_hi:[1,0,1]
	v_pk_fma_f16 v8, v21, v24, v8 op_sel:[0,1,0]
	v_pk_fma_f16 v6, v21, v25, v6 op_sel_hi:[1,0,1]
	v_pk_fma_f16 v15, v21, v25, v15 op_sel:[0,1,0]
	s_waitcnt lgkmcnt(10)
	v_pk_fma_f16 v18, v62, v50, v18 op_sel_hi:[1,0,1]
	v_pk_fma_f16 v19, v62, v50, v19 op_sel:[0,1,0]
	v_pk_fma_f16 v20, v62, v51, v22 op_sel_hi:[1,0,1]
	v_pk_fma_f16 v17, v62, v51, v17 op_sel:[0,1,0]
	v_pk_fma_f16 v14, v63, v50, v14 op_sel_hi:[1,0,1]
	v_pk_fma_f16 v8, v63, v50, v8 op_sel:[0,1,0]
	v_pk_fma_f16 v6, v63, v51, v6 op_sel_hi:[1,0,1]
	v_pk_fma_f16 v15, v63, v51, v15 op_sel:[0,1,0]
	v_pk_fma_f16 v18, v64, v52, v18 op_sel_hi:[1,0,1]
	v_pk_fma_f16 v19, v64, v52, v19 op_sel:[0,1,0]
	v_pk_fma_f16 v20, v64, v53, v20 op_sel_hi:[1,0,1]
	v_pk_fma_f16 v17, v64, v53, v17 op_sel:[0,1,0]
	v_pk_fma_f16 v14, v65, v52, v14 op_sel_hi:[1,0,1]
	v_pk_fma_f16 v8, v65, v52, v8 op_sel:[0,1,0]
	v_pk_fma_f16 v6, v65, v53, v6 op_sel_hi:[1,0,1]
	v_pk_fma_f16 v15, v65, v53, v15 op_sel:[0,1,0]
	;; [unrolled: 17-line block ×4, first 2 shown]
	s_waitcnt lgkmcnt(0)
	s_barrier
	s_load_dword s0, s[18:19], 0x4
	v_pk_fma_f16 v18, v74, v82, v18 op_sel_hi:[1,0,1]
	v_pk_fma_f16 v19, v74, v82, v19 op_sel:[0,1,0]
	v_pk_fma_f16 v20, v74, v83, v20 op_sel_hi:[1,0,1]
	v_pk_fma_f16 v17, v74, v83, v17 op_sel:[0,1,0]
	;; [unrolled: 2-line block ×20, first 2 shown]
	s_waitcnt lgkmcnt(0)
	s_lshl_b32 s0, s0, 5
	v_pk_fma_f16 v18, v92, v100, v18 op_sel_hi:[1,0,1]
	v_pk_fma_f16 v19, v92, v100, v19 op_sel:[0,1,0]
	v_pk_fma_f16 v20, v92, v101, v20 op_sel_hi:[1,0,1]
	v_pk_fma_f16 v17, v92, v101, v17 op_sel:[0,1,0]
	;; [unrolled: 2-line block ×4, first 2 shown]
	s_add_i32 s22, s0, s22
	v_pk_fma_f16 v18, v94, v102, v18 op_sel_hi:[1,0,1]
	v_pk_fma_f16 v19, v94, v102, v19 op_sel:[0,1,0]
	v_pk_fma_f16 v20, v94, v103, v20 op_sel_hi:[1,0,1]
	v_pk_fma_f16 v17, v94, v103, v17 op_sel:[0,1,0]
	;; [unrolled: 2-line block ×4, first 2 shown]
	s_cmp_ge_i32 s22, s34
	v_pk_fma_f16 v32, v96, v104, v18 op_sel_hi:[1,0,1]
	v_pk_fma_f16 v27, v96, v104, v19 op_sel:[0,1,0]
	v_pk_fma_f16 v26, v96, v105, v20 op_sel_hi:[1,0,1]
	v_pk_fma_f16 v17, v96, v105, v17 op_sel:[0,1,0]
	;; [unrolled: 2-line block ×4, first 2 shown]
	s_cbranch_scc0 .LBB9_17
.LBB9_18:
	v_cmp_lt_i32_e32 vcc, v33, v29
	v_cndmask_b32_e32 v16, v28, v33, vcc
	v_cmp_lt_i32_e32 vcc, v34, v29
	v_cndmask_b32_e32 v18, v28, v34, vcc
	v_cmp_lt_i32_e32 vcc, v35, v29
	v_lshlrev_b32_e32 v16, 2, v16
	v_lshlrev_b32_e32 v22, 2, v18
	v_cndmask_b32_e32 v18, v28, v35, vcc
	v_lshlrev_b32_e32 v23, 2, v18
	ds_bpermute_b32 v18, v16, v10
	ds_bpermute_b32 v19, v16, v11
	;; [unrolled: 1-line block ×4, first 2 shown]
	v_cmp_lt_i32_e32 vcc, v31, v29
	v_cndmask_b32_e32 v16, v28, v31, vcc
	s_waitcnt lgkmcnt(2)
	v_pk_add_f32 v[10:11], v[10:11], v[18:19]
	ds_bpermute_b32 v18, v22, v10
	s_waitcnt lgkmcnt(1)
	v_pk_add_f32 v[12:13], v[12:13], v[20:21]
	ds_bpermute_b32 v19, v22, v11
	ds_bpermute_b32 v20, v22, v12
	ds_bpermute_b32 v21, v22, v13
	v_lshlrev_b32_e32 v16, 2, v16
	v_cmp_lt_i32_e32 vcc, v30, v29
	s_waitcnt lgkmcnt(2)
	v_pk_add_f32 v[10:11], v[10:11], v[18:19]
	ds_bpermute_b32 v18, v23, v10
	s_waitcnt lgkmcnt(1)
	v_pk_add_f32 v[12:13], v[12:13], v[20:21]
	ds_bpermute_b32 v19, v23, v11
	ds_bpermute_b32 v20, v23, v12
	;; [unrolled: 1-line block ×3, first 2 shown]
	v_cndmask_b32_e32 v22, v28, v30, vcc
	s_cmp_lg_u64 s[20:21], 0
	s_waitcnt lgkmcnt(2)
	v_pk_add_f32 v[10:11], v[10:11], v[18:19]
	ds_bpermute_b32 v18, v16, v10
	s_waitcnt lgkmcnt(1)
	v_pk_add_f32 v[12:13], v[12:13], v[20:21]
	ds_bpermute_b32 v19, v16, v11
	ds_bpermute_b32 v20, v16, v12
	ds_bpermute_b32 v21, v16, v13
	v_lshlrev_b32_e32 v16, 2, v22
	s_cselect_b64 s[0:1], -1, 0
	s_waitcnt lgkmcnt(2)
	v_pk_add_f32 v[10:11], v[10:11], v[18:19]
	ds_bpermute_b32 v18, v16, v10
	s_waitcnt lgkmcnt(1)
	v_pk_add_f32 v[20:21], v[12:13], v[20:21]
	ds_bpermute_b32 v19, v16, v11
	ds_bpermute_b32 v22, v16, v20
	ds_bpermute_b32 v23, v16, v21
	s_cmp_eq_u32 s7, 0
	s_cselect_b64 s[2:3], -1, 0
	s_and_b64 s[0:1], s[2:3], s[0:1]
	s_waitcnt lgkmcnt(2)
	v_pk_add_f32 v[12:13], v[10:11], v[18:19]
	s_waitcnt lgkmcnt(0)
	v_pk_add_f32 v[10:11], v[20:21], v[22:23]
	s_and_b64 vcc, exec, s[0:1]
	s_cbranch_vccz .LBB9_20
; %bb.19:
	v_add_u32_e32 v18, s35, v7
	v_ashrrev_i32_e32 v19, 31, v18
	v_lshlrev_b64 v[18:19], 2, v[18:19]
	v_mov_b32_e32 v16, s21
	v_add_co_u32_e32 v18, vcc, s20, v18
	v_addc_co_u32_e32 v19, vcc, v16, v19, vcc
	global_load_dwordx4 v[18:21], v[18:19], off
	v_max_f32_e32 v16, v1, v1
	v_max_f32_e32 v22, v0, v0
	;; [unrolled: 1-line block ×4, first 2 shown]
	s_mov_b32 s2, 0x3fb8aa3b
	s_mov_b32 s0, 0xc2ce8ed0
	;; [unrolled: 1-line block ×3, first 2 shown]
	v_mov_b32_e32 v28, 0x7f800000
	s_waitcnt vmcnt(0)
	v_max_f32_e32 v23, v19, v19
	v_max_f32_e32 v25, v18, v18
	;; [unrolled: 1-line block ×6, first 2 shown]
	v_pk_add_f32 v[0:1], v[0:1], v[22:23] neg_lo:[0,1] neg_hi:[0,1]
	v_max_f32_e32 v25, v24, v30
	v_max_f32_e32 v24, v29, v31
	v_mul_f32_e32 v16, 0x3fb8aa3b, v1
	v_pk_add_f32 v[2:3], v[2:3], v[24:25] neg_lo:[0,1] neg_hi:[0,1]
	v_mul_f32_e32 v29, 0x3fb8aa3b, v0
	v_fma_f32 v35, v1, s2, -v16
	v_rndne_f32_e32 v36, v16
	v_mul_f32_e32 v30, 0x3fb8aa3b, v3
	v_fma_f32 v37, v0, s2, -v29
	v_rndne_f32_e32 v38, v29
	v_fmac_f32_e32 v35, 0x32a5705f, v1
	v_sub_f32_e32 v16, v16, v36
	v_mul_f32_e32 v31, 0x3fb8aa3b, v2
	v_fma_f32 v39, v3, s2, -v30
	v_rndne_f32_e32 v40, v30
	v_fmac_f32_e32 v37, 0x32a5705f, v0
	v_sub_f32_e32 v29, v29, v38
	v_add_f32_e32 v16, v16, v35
	v_fma_f32 v41, v2, s2, -v31
	v_rndne_f32_e32 v42, v31
	v_cvt_i32_f32_e32 v36, v36
	v_fmac_f32_e32 v39, 0x32a5705f, v3
	v_sub_f32_e32 v30, v30, v40
	v_add_f32_e32 v29, v29, v37
	v_exp_f32_e32 v16, v16
	v_cvt_i32_f32_e32 v38, v38
	v_fmac_f32_e32 v41, 0x32a5705f, v2
	v_sub_f32_e32 v31, v31, v42
	v_add_f32_e32 v30, v30, v39
	v_exp_f32_e32 v29, v29
	v_cvt_i32_f32_e32 v40, v40
	v_add_f32_e32 v31, v31, v41
	v_exp_f32_e32 v30, v30
	v_cvt_i32_f32_e32 v42, v42
	v_exp_f32_e32 v31, v31
	v_ldexp_f32 v16, v16, v36
	v_cmp_ngt_f32_e32 vcc, s0, v1
	v_ldexp_f32 v29, v29, v38
	v_cndmask_b32_e32 v16, 0, v16, vcc
	v_cmp_ngt_f32_e32 vcc, s0, v0
	v_ldexp_f32 v30, v30, v40
	v_cndmask_b32_e32 v29, 0, v29, vcc
	;; [unrolled: 3-line block ×3, first 2 shown]
	v_cmp_ngt_f32_e32 vcc, s0, v2
	v_cndmask_b32_e32 v31, 0, v31, vcc
	v_cmp_nlt_f32_e32 vcc, s1, v1
	v_cndmask_b32_e32 v1, v28, v16, vcc
	v_cmp_nlt_f32_e32 vcc, s1, v0
	;; [unrolled: 2-line block ×4, first 2 shown]
	v_cndmask_b32_e32 v2, v28, v31, vcc
	v_cvt_f16_f32_e32 v16, v0
	v_cvt_f16_f32_e32 v29, v1
	v_pk_add_f32 v[20:21], v[20:21], v[24:25] neg_lo:[0,1] neg_hi:[0,1]
	v_cvt_f16_f32_e32 v30, v2
	v_mul_f32_e32 v33, 0x3fb8aa3b, v21
	v_mul_f32_e32 v34, 0x3fb8aa3b, v20
	v_fma_f32 v43, v21, s2, -v33
	v_rndne_f32_e32 v44, v33
	v_fmac_f32_e32 v43, 0x32a5705f, v21
	v_sub_f32_e32 v33, v33, v44
	v_pk_mul_f16 v32, v16, v32 op_sel_hi:[0,1]
	v_pk_mul_f16 v14, v16, v14 op_sel_hi:[0,1]
	;; [unrolled: 1-line block ×4, first 2 shown]
	v_fma_f32 v16, v20, s2, -v34
	v_rndne_f32_e32 v29, v34
	v_add_f32_e32 v33, v33, v43
	v_pk_mul_f16 v26, v30, v26 op_sel_hi:[0,1]
	v_pk_mul_f16 v6, v30, v6 op_sel_hi:[0,1]
	v_fmac_f32_e32 v16, 0x32a5705f, v20
	v_sub_f32_e32 v30, v34, v29
	v_cvt_i32_f32_e32 v44, v44
	v_exp_f32_e32 v33, v33
	v_add_f32_e32 v16, v30, v16
	v_exp_f32_e32 v16, v16
	v_cvt_i32_f32_e32 v29, v29
	v_cvt_f16_f32_e32 v31, v3
	v_pk_add_f32 v[18:19], v[18:19], v[22:23] neg_lo:[0,1] neg_hi:[0,1]
	v_ldexp_f32 v33, v33, v44
	v_cmp_ngt_f32_e32 vcc, s0, v21
	v_cndmask_b32_e32 v30, 0, v33, vcc
	v_cmp_nlt_f32_e32 vcc, s1, v21
	v_ldexp_f32 v16, v16, v29
	v_mul_f32_e32 v29, 0x3fb8aa3b, v19
	v_pk_mul_f16 v17, v31, v17 op_sel_hi:[0,1]
	v_pk_mul_f16 v15, v31, v15 op_sel_hi:[0,1]
	v_cndmask_b32_e32 v21, v28, v30, vcc
	v_fma_f32 v30, v19, s2, -v29
	v_rndne_f32_e32 v31, v29
	v_fmac_f32_e32 v30, 0x32a5705f, v19
	v_sub_f32_e32 v29, v29, v31
	v_add_f32_e32 v29, v29, v30
	v_exp_f32_e32 v29, v29
	v_cvt_i32_f32_e32 v30, v31
	v_cmp_ngt_f32_e32 vcc, s0, v20
	v_cndmask_b32_e32 v16, 0, v16, vcc
	v_cmp_nlt_f32_e32 vcc, s1, v20
	v_cndmask_b32_e32 v20, v28, v16, vcc
	v_ldexp_f32 v16, v29, v30
	v_mul_f32_e32 v29, 0x3fb8aa3b, v18
	v_fma_f32 v30, v18, s2, -v29
	v_rndne_f32_e32 v31, v29
	v_fmac_f32_e32 v30, 0x32a5705f, v18
	v_sub_f32_e32 v29, v29, v31
	v_add_f32_e32 v29, v29, v30
	v_exp_f32_e32 v29, v29
	v_cvt_i32_f32_e32 v30, v31
	v_cmp_ngt_f32_e32 vcc, s0, v19
	v_cndmask_b32_e32 v16, 0, v16, vcc
	v_cmp_nlt_f32_e32 vcc, s1, v19
	v_cndmask_b32_e32 v19, v28, v16, vcc
	v_ldexp_f32 v16, v29, v30
	v_cmp_ngt_f32_e32 vcc, s0, v18
	v_cndmask_b32_e32 v16, 0, v16, vcc
	v_cmp_nlt_f32_e32 vcc, s1, v18
	v_cndmask_b32_e32 v18, v28, v16, vcc
	v_pk_fma_f32 v[10:11], v[10:11], v[2:3], v[20:21]
	v_pk_fma_f32 v[12:13], v[12:13], v[0:1], v[18:19]
	v_pk_mov_b32 v[0:1], v[22:23], v[22:23] op_sel:[0,1]
	v_pk_mov_b32 v[2:3], v[24:25], v[24:25] op_sel:[0,1]
.LBB9_20:
	v_cmp_gt_i32_e32 vcc, s30, v5
	s_and_saveexec_b64 s[0:1], vcc
	s_cbranch_execz .LBB9_37
; %bb.21:
	s_load_dword s6, s[4:5], 0xd4
	v_mov_b32_e32 v16, 1.0
	s_waitcnt lgkmcnt(0)
	s_cmp_lg_u32 s6, 1
	s_cselect_b64 s[0:1], -1, 0
	s_cmp_eq_u32 s6, 1
	s_cselect_b64 s[4:5], -1, 0
	s_and_b64 vcc, exec, s[0:1]
	s_cbranch_vccnz .LBB9_23
; %bb.22:
	v_div_scale_f32 v16, s[2:3], v12, v12, 1.0
	v_rcp_f32_e32 v18, v16
	v_div_scale_f32 v19, vcc, 1.0, v12, 1.0
	v_fma_f32 v20, -v16, v18, 1.0
	v_fmac_f32_e32 v18, v20, v18
	v_mul_f32_e32 v20, v19, v18
	v_fma_f32 v21, -v16, v20, v19
	v_fmac_f32_e32 v20, v21, v18
	v_fma_f32 v16, -v16, v20, v19
	v_div_fmas_f32 v16, v16, v18, v20
	v_div_fixup_f32 v16, v16, v12, 1.0
.LBB9_23:
	s_mul_i32 s33, s33, s30
	v_add_u32_e32 v5, s33, v5
	v_mul_lo_u32 v5, v5, s31
	v_add3_u32 v5, s35, v7, v5
	v_cmp_eq_u32_e32 vcc, 0, v4
	v_mul_lo_u32 v4, s6, v5
	v_add_u32_e32 v4, s7, v4
	v_cvt_f32_f16_sdwa v21, v32 dst_sel:DWORD dst_unused:UNUSED_PAD src0_sel:WORD_1
	v_cvt_f32_f16_e32 v20, v32
	v_cvt_f32_f16_sdwa v23, v14 dst_sel:DWORD dst_unused:UNUSED_PAD src0_sel:WORD_1
	v_cvt_f32_f16_e32 v22, v14
	v_lshl_add_u32 v18, v4, 7, v9
	v_mov_b32_e32 v19, 0
	v_lshlrev_b64 v[18:19], 2, v[18:19]
	s_and_b64 s[2:3], vcc, s[0:1]
	v_mov_b32_e32 v5, s25
	v_add_co_u32_e32 v24, vcc, s24, v18
	v_addc_co_u32_e32 v25, vcc, v5, v19, vcc
	v_pk_mul_f32 v[18:19], v[16:17], v[20:21] op_sel_hi:[0,1]
	v_pk_mul_f32 v[20:21], v[16:17], v[22:23] op_sel_hi:[0,1]
	global_store_dwordx4 v[24:25], v[18:21], off
	s_and_saveexec_b64 s[0:1], s[2:3]
	s_cbranch_execz .LBB9_25
; %bb.24:
	v_ashrrev_i32_e32 v5, 31, v4
	v_lshlrev_b64 v[18:19], 3, v[4:5]
	v_mov_b32_e32 v5, s27
	v_add_co_u32_e32 v18, vcc, s26, v18
	v_addc_co_u32_e32 v19, vcc, v5, v19, vcc
	v_mov_b32_e32 v20, v0
	v_mov_b32_e32 v21, v12
	global_store_dwordx2 v[18:19], v[20:21], off
.LBB9_25:
	s_or_b64 exec, exec, s[0:1]
	v_cndmask_b32_e64 v0, 0, 1, s[4:5]
	v_cmp_ne_u32_e64 s[0:1], 1, v0
	s_andn2_b64 vcc, exec, s[4:5]
	v_mov_b32_e32 v0, 1.0
	s_cbranch_vccnz .LBB9_27
; %bb.26:
	v_div_scale_f32 v0, s[4:5], v13, v13, 1.0
	v_rcp_f32_e32 v5, v0
	v_div_scale_f32 v7, vcc, 1.0, v13, 1.0
	v_fma_f32 v12, -v0, v5, 1.0
	v_fmac_f32_e32 v5, v12, v5
	v_mul_f32_e32 v12, v7, v5
	v_fma_f32 v14, -v0, v12, v7
	v_fmac_f32_e32 v12, v14, v5
	v_fma_f32 v0, -v0, v12, v7
	v_div_fmas_f32 v0, v0, v5, v12
	v_div_fixup_f32 v0, v0, v13, 1.0
.LBB9_27:
	v_add_u32_e32 v4, s6, v4
	v_cvt_f32_f16_sdwa v21, v27 dst_sel:DWORD dst_unused:UNUSED_PAD src0_sel:WORD_1
	v_cvt_f32_f16_e32 v20, v27
	v_cvt_f32_f16_sdwa v23, v8 dst_sel:DWORD dst_unused:UNUSED_PAD src0_sel:WORD_1
	v_cvt_f32_f16_e32 v22, v8
	v_lshl_add_u32 v18, v4, 7, v9
	v_mov_b32_e32 v19, 0
	v_lshlrev_b64 v[18:19], 2, v[18:19]
	v_mov_b32_e32 v5, s25
	v_add_co_u32_e32 v24, vcc, s24, v18
	v_addc_co_u32_e32 v25, vcc, v5, v19, vcc
	v_pk_mul_f32 v[18:19], v[0:1], v[20:21] op_sel_hi:[0,1]
	v_pk_mul_f32 v[20:21], v[0:1], v[22:23] op_sel_hi:[0,1]
	global_store_dwordx4 v[24:25], v[18:21], off
	s_and_saveexec_b64 s[4:5], s[2:3]
	s_cbranch_execz .LBB9_29
; %bb.28:
	v_ashrrev_i32_e32 v5, 31, v4
	v_lshlrev_b64 v[18:19], 3, v[4:5]
	v_mov_b32_e32 v0, s27
	v_add_co_u32_e32 v18, vcc, s26, v18
	v_addc_co_u32_e32 v19, vcc, v0, v19, vcc
	v_mov_b32_e32 v12, v1
	global_store_dwordx2 v[18:19], v[12:13], off
.LBB9_29:
	s_or_b64 exec, exec, s[4:5]
	s_and_b64 vcc, exec, s[0:1]
	v_mov_b32_e32 v8, 1.0
	s_cbranch_vccnz .LBB9_31
; %bb.30:
	v_div_scale_f32 v0, s[4:5], v10, v10, 1.0
	v_rcp_f32_e32 v1, v0
	v_div_scale_f32 v5, vcc, 1.0, v10, 1.0
	v_fma_f32 v7, -v0, v1, 1.0
	v_fmac_f32_e32 v1, v7, v1
	v_mul_f32_e32 v7, v5, v1
	v_fma_f32 v8, -v0, v7, v5
	v_fmac_f32_e32 v7, v8, v1
	v_fma_f32 v0, -v0, v7, v5
	v_div_fmas_f32 v0, v0, v1, v7
	v_div_fixup_f32 v8, v0, v10, 1.0
.LBB9_31:
	v_add_u32_e32 v0, s6, v4
	v_cvt_f32_f16_sdwa v13, v26 dst_sel:DWORD dst_unused:UNUSED_PAD src0_sel:WORD_1
	v_cvt_f32_f16_e32 v12, v26
	v_cvt_f32_f16_sdwa v7, v6 dst_sel:DWORD dst_unused:UNUSED_PAD src0_sel:WORD_1
	v_cvt_f32_f16_e32 v6, v6
	v_lshl_add_u32 v4, v0, 7, v9
	v_mov_b32_e32 v5, 0
	v_lshlrev_b64 v[4:5], 2, v[4:5]
	v_mov_b32_e32 v1, s25
	v_add_co_u32_e32 v18, vcc, s24, v4
	v_addc_co_u32_e32 v19, vcc, v1, v5, vcc
	v_pk_mul_f32 v[4:5], v[8:9], v[12:13] op_sel_hi:[0,1]
	v_pk_mul_f32 v[6:7], v[8:9], v[6:7] op_sel_hi:[0,1]
	global_store_dwordx4 v[18:19], v[4:7], off
	s_and_saveexec_b64 s[4:5], s[2:3]
	s_cbranch_execz .LBB9_33
; %bb.32:
	v_ashrrev_i32_e32 v1, 31, v0
	v_lshlrev_b64 v[4:5], 3, v[0:1]
	v_mov_b32_e32 v1, s27
	v_add_co_u32_e32 v4, vcc, s26, v4
	v_addc_co_u32_e32 v5, vcc, v1, v5, vcc
	v_mov_b32_e32 v6, v2
	v_mov_b32_e32 v7, v10
	global_store_dwordx2 v[4:5], v[6:7], off
.LBB9_33:
	s_or_b64 exec, exec, s[4:5]
	s_and_b64 vcc, exec, s[0:1]
	v_mov_b32_e32 v2, 1.0
	s_cbranch_vccnz .LBB9_35
; %bb.34:
	v_div_scale_f32 v1, s[0:1], v11, v11, 1.0
	v_rcp_f32_e32 v2, v1
	v_div_scale_f32 v4, vcc, 1.0, v11, 1.0
	v_fma_f32 v5, -v1, v2, 1.0
	v_fmac_f32_e32 v2, v5, v2
	v_mul_f32_e32 v5, v4, v2
	v_fma_f32 v6, -v1, v5, v4
	v_fmac_f32_e32 v5, v6, v2
	v_fma_f32 v1, -v1, v5, v4
	v_div_fmas_f32 v1, v1, v2, v5
	v_div_fixup_f32 v2, v1, v11, 1.0
.LBB9_35:
	v_add_u32_e32 v0, s6, v0
	v_lshl_add_u32 v4, v0, 7, v9
	v_cvt_f32_f16_sdwa v7, v17 dst_sel:DWORD dst_unused:UNUSED_PAD src0_sel:WORD_1
	v_cvt_f32_f16_e32 v6, v17
	v_cvt_f32_f16_sdwa v9, v15 dst_sel:DWORD dst_unused:UNUSED_PAD src0_sel:WORD_1
	v_cvt_f32_f16_e32 v8, v15
	v_mov_b32_e32 v5, 0
	v_lshlrev_b64 v[4:5], 2, v[4:5]
	v_mov_b32_e32 v1, s25
	v_add_co_u32_e32 v12, vcc, s24, v4
	v_addc_co_u32_e32 v13, vcc, v1, v5, vcc
	v_pk_mul_f32 v[4:5], v[2:3], v[6:7] op_sel_hi:[0,1]
	v_pk_mul_f32 v[6:7], v[2:3], v[8:9] op_sel_hi:[0,1]
	global_store_dwordx4 v[12:13], v[4:7], off
	s_and_b64 exec, exec, s[2:3]
	s_cbranch_execz .LBB9_37
; %bb.36:
	v_ashrrev_i32_e32 v1, 31, v0
	v_lshlrev_b64 v[0:1], 3, v[0:1]
	v_mov_b32_e32 v2, s27
	v_add_co_u32_e32 v0, vcc, s26, v0
	v_addc_co_u32_e32 v1, vcc, v2, v1, vcc
	v_mov_b32_e32 v10, v3
	global_store_dwordx2 v[0:1], v[10:11], off
.LBB9_37:
	s_endpgm
	.section	.rodata,"a",@progbits
	.p2align	6, 0x0
	.amdhsa_kernel _ZL15flash_attn_tileILi192ELi128ELi4ELi8ELb0EEvPKcS1_S1_S1_S1_PKiPfP15HIP_vector_typeIfLj2EEffffjfiS5_IjLj3EEiiiiiiiiiiiliiliiiiil
		.amdhsa_group_segment_fixed_size 18944
		.amdhsa_private_segment_fixed_size 0
		.amdhsa_kernarg_size 464
		.amdhsa_user_sgpr_count 6
		.amdhsa_user_sgpr_private_segment_buffer 1
		.amdhsa_user_sgpr_dispatch_ptr 0
		.amdhsa_user_sgpr_queue_ptr 0
		.amdhsa_user_sgpr_kernarg_segment_ptr 1
		.amdhsa_user_sgpr_dispatch_id 0
		.amdhsa_user_sgpr_flat_scratch_init 0
		.amdhsa_user_sgpr_kernarg_preload_length 0
		.amdhsa_user_sgpr_kernarg_preload_offset 0
		.amdhsa_user_sgpr_private_segment_size 0
		.amdhsa_uses_dynamic_stack 0
		.amdhsa_system_sgpr_private_segment_wavefront_offset 0
		.amdhsa_system_sgpr_workgroup_id_x 1
		.amdhsa_system_sgpr_workgroup_id_y 1
		.amdhsa_system_sgpr_workgroup_id_z 1
		.amdhsa_system_sgpr_workgroup_info 0
		.amdhsa_system_vgpr_workitem_id 1
		.amdhsa_next_free_vgpr 117
		.amdhsa_next_free_sgpr 41
		.amdhsa_accum_offset 120
		.amdhsa_reserve_vcc 1
		.amdhsa_reserve_flat_scratch 0
		.amdhsa_float_round_mode_32 0
		.amdhsa_float_round_mode_16_64 0
		.amdhsa_float_denorm_mode_32 3
		.amdhsa_float_denorm_mode_16_64 3
		.amdhsa_dx10_clamp 1
		.amdhsa_ieee_mode 1
		.amdhsa_fp16_overflow 0
		.amdhsa_tg_split 0
		.amdhsa_exception_fp_ieee_invalid_op 0
		.amdhsa_exception_fp_denorm_src 0
		.amdhsa_exception_fp_ieee_div_zero 0
		.amdhsa_exception_fp_ieee_overflow 0
		.amdhsa_exception_fp_ieee_underflow 0
		.amdhsa_exception_fp_ieee_inexact 0
		.amdhsa_exception_int_div_zero 0
	.end_amdhsa_kernel
	.section	.text._ZL15flash_attn_tileILi192ELi128ELi4ELi8ELb0EEvPKcS1_S1_S1_S1_PKiPfP15HIP_vector_typeIfLj2EEffffjfiS5_IjLj3EEiiiiiiiiiiiliiliiiiil,"axG",@progbits,_ZL15flash_attn_tileILi192ELi128ELi4ELi8ELb0EEvPKcS1_S1_S1_S1_PKiPfP15HIP_vector_typeIfLj2EEffffjfiS5_IjLj3EEiiiiiiiiiiiliiliiiiil,comdat
.Lfunc_end9:
	.size	_ZL15flash_attn_tileILi192ELi128ELi4ELi8ELb0EEvPKcS1_S1_S1_S1_PKiPfP15HIP_vector_typeIfLj2EEffffjfiS5_IjLj3EEiiiiiiiiiiiliiliiiiil, .Lfunc_end9-_ZL15flash_attn_tileILi192ELi128ELi4ELi8ELb0EEvPKcS1_S1_S1_S1_PKiPfP15HIP_vector_typeIfLj2EEffffjfiS5_IjLj3EEiiiiiiiiiiiliiliiiiil
                                        ; -- End function
	.section	.AMDGPU.csdata,"",@progbits
; Kernel info:
; codeLenInByte = 12940
; NumSgprs: 45
; NumVgprs: 117
; NumAgprs: 0
; TotalNumVgprs: 117
; ScratchSize: 0
; MemoryBound: 0
; FloatMode: 240
; IeeeMode: 1
; LDSByteSize: 18944 bytes/workgroup (compile time only)
; SGPRBlocks: 5
; VGPRBlocks: 14
; NumSGPRsForWavesPerEU: 45
; NumVGPRsForWavesPerEU: 117
; AccumOffset: 120
; Occupancy: 3
; WaveLimiterHint : 1
; COMPUTE_PGM_RSRC2:SCRATCH_EN: 0
; COMPUTE_PGM_RSRC2:USER_SGPR: 6
; COMPUTE_PGM_RSRC2:TRAP_HANDLER: 0
; COMPUTE_PGM_RSRC2:TGID_X_EN: 1
; COMPUTE_PGM_RSRC2:TGID_Y_EN: 1
; COMPUTE_PGM_RSRC2:TGID_Z_EN: 1
; COMPUTE_PGM_RSRC2:TIDIG_COMP_CNT: 1
; COMPUTE_PGM_RSRC3_GFX90A:ACCUM_OFFSET: 29
; COMPUTE_PGM_RSRC3_GFX90A:TG_SPLIT: 0
	.section	.text._ZL25flash_attn_mask_to_KV_maxILi4EEvPK7__half2Piiii,"axG",@progbits,_ZL25flash_attn_mask_to_KV_maxILi4EEvPK7__half2Piiii,comdat
	.globl	_ZL25flash_attn_mask_to_KV_maxILi4EEvPK7__half2Piiii ; -- Begin function _ZL25flash_attn_mask_to_KV_maxILi4EEvPK7__half2Piiii
	.p2align	8
	.type	_ZL25flash_attn_mask_to_KV_maxILi4EEvPK7__half2Piiii,@function
_ZL25flash_attn_mask_to_KV_maxILi4EEvPK7__half2Piiii: ; @_ZL25flash_attn_mask_to_KV_maxILi4EEvPK7__half2Piiii
; %bb.0:
	s_load_dwordx4 s[8:11], s[4:5], 0x0
	v_cmp_gt_u32_e32 vcc, 32, v0
	s_and_saveexec_b64 s[0:1], vcc
	s_cbranch_execz .LBB10_2
; %bb.1:
	v_lshlrev_b32_e32 v1, 2, v0
	v_mov_b32_e32 v2, 1
	ds_write_b32 v1, v2
.LBB10_2:
	s_or_b64 exec, exec, s[0:1]
	s_load_dwordx4 s[12:15], s[4:5], 0x10
	s_load_dword s24, s[4:5], 0x20
	v_and_b32_e32 v2, 31, v0
	v_lshlrev_b32_e32 v6, 2, v2
	v_lshrrev_b32_e32 v1, 3, v0
	s_waitcnt lgkmcnt(0)
	s_mul_i32 s1, s6, s13
	s_mul_i32 s0, s7, s14
	s_lshl_b32 s1, s1, 2
	s_add_i32 s0, s0, s1
	s_ashr_i32 s1, s0, 31
	s_lshl_b64 s[0:1], s[0:1], 2
	s_add_u32 s25, s8, s0
	s_addc_u32 s26, s9, s1
	v_cmp_eq_u32_e64 s[0:1], 0, v2
	v_mbcnt_lo_u32_b32 v2, -1, 0
	v_mbcnt_hi_u32_b32 v7, -1, v2
	v_and_b32_e32 v2, 0x60, v7
	s_lshl_b32 s12, s12, 8
	s_mov_b64 s[4:5], 0
	v_mov_b32_e32 v3, 0
	s_movk_i32 s27, 0x204
	s_movk_i32 s28, 0x7fff
	;; [unrolled: 1-line block ×3, first 2 shown]
	v_add_u32_e32 v8, 32, v2
	v_xor_b32_e32 v9, 16, v7
	v_xor_b32_e32 v10, 8, v7
	;; [unrolled: 1-line block ×5, first 2 shown]
	s_barrier
	s_waitcnt lgkmcnt(0)
                                        ; implicit-def: $sgpr2_sgpr3
	s_branch .LBB10_5
.LBB10_3:                               ;   in Loop: Header=BB10_5 Depth=1
	s_or_b64 exec, exec, s[8:9]
	s_waitcnt lgkmcnt(0)
	s_barrier
	ds_read_b32 v16, v6
	s_waitcnt lgkmcnt(0)
	s_barrier
	ds_bpermute_b32 v2, v2, v16
	v_cmp_ne_u32_e32 vcc, 0, v16
	s_waitcnt lgkmcnt(0)
	v_cmp_ne_u32_e64 s[2:3], 0, v2
	s_and_b64 s[2:3], vcc, s[2:3]
	v_cndmask_b32_e64 v2, 0, 1, s[2:3]
	ds_bpermute_b32 v2, v4, v2
	s_waitcnt lgkmcnt(0)
	v_cmp_ne_u32_e32 vcc, 0, v2
	s_and_b64 s[2:3], vcc, s[2:3]
	v_cndmask_b32_e64 v2, 0, 1, s[2:3]
	ds_bpermute_b32 v2, v5, v2
	s_waitcnt lgkmcnt(0)
	v_cmp_ne_u32_e32 vcc, 0, v2
	;; [unrolled: 5-line block ×3, first 2 shown]
	s_and_b64 s[2:3], vcc, s[2:3]
	v_cndmask_b32_e64 v2, 0, 1, s[2:3]
	ds_bpermute_b32 v2, v15, v2
	s_xor_b64 s[2:3], s[2:3], -1
	s_waitcnt lgkmcnt(0)
	v_cmp_eq_u32_e32 vcc, 0, v2
	s_or_b64 s[2:3], vcc, s[2:3]
.LBB10_4:                               ;   in Loop: Header=BB10_5 Depth=1
	s_and_b64 s[8:9], exec, s[2:3]
	s_or_b64 s[4:5], s[8:9], s[4:5]
	v_mov_b32_e32 v2, s12
	s_mov_b32 s12, s30
	s_andn2_b64 exec, exec, s[4:5]
	s_cbranch_execz .LBB10_20
.LBB10_5:                               ; =>This Inner Loop Header: Depth=1
	s_add_i32 s30, s12, 0xffffff00
	s_or_b64 s[2:3], s[2:3], exec
	s_cmp_lt_i32 s30, 0
	s_cbranch_scc1 .LBB10_4
; %bb.6:                                ;   in Loop: Header=BB10_5 Depth=1
	s_lshr_b32 s2, s30, 1
	v_add_u32_e32 v2, s2, v0
	v_lshlrev_b64 v[4:5], 2, v[2:3]
	v_mov_b32_e32 v14, s26
	v_add_co_u32_e32 v4, vcc, s25, v4
	v_addc_co_u32_e32 v5, vcc, v14, v5, vcc
	global_load_dword v4, v[4:5], off
	s_mov_b64 s[8:9], 0
	s_waitcnt vmcnt(0)
	v_cmp_class_f16_e64 s[2:3], v4, s27
	v_and_b32_sdwa v4, s28, v4 dst_sel:DWORD dst_unused:UNUSED_PAD src0_sel:DWORD src1_sel:WORD_1
	v_cmp_eq_f16_e32 vcc, s29, v4
	s_and_b64 s[14:15], s[2:3], vcc
	s_and_saveexec_b64 s[2:3], s[14:15]
	s_cbranch_execz .LBB10_18
; %bb.7:                                ;   in Loop: Header=BB10_5 Depth=1
	v_add_u32_e32 v4, s13, v2
	v_ashrrev_i32_e32 v5, 31, v4
	v_lshlrev_b64 v[14:15], 2, v[4:5]
	v_mov_b32_e32 v2, s26
	v_add_co_u32_e32 v14, vcc, s25, v14
	v_addc_co_u32_e32 v15, vcc, v2, v15, vcc
	global_load_dword v2, v[14:15], off
	s_mov_b64 s[14:15], 0
	s_waitcnt vmcnt(0)
	v_cmp_class_f16_e64 s[16:17], v2, s27
	s_and_saveexec_b64 s[8:9], s[16:17]
	s_cbranch_execz .LBB10_17
; %bb.8:                                ;   in Loop: Header=BB10_5 Depth=1
	v_cmp_class_f16_sdwa s[18:19], v2, s27 src0_sel:WORD_1 src1_sel:DWORD
	s_mov_b64 s[16:17], 0
	s_and_saveexec_b64 s[14:15], s[18:19]
	s_cbranch_execz .LBB10_16
; %bb.9:                                ;   in Loop: Header=BB10_5 Depth=1
	v_add_u32_e32 v4, s13, v4
	v_ashrrev_i32_e32 v5, 31, v4
	v_lshlrev_b64 v[14:15], 2, v[4:5]
	v_mov_b32_e32 v2, s26
	v_add_co_u32_e32 v14, vcc, s25, v14
	v_addc_co_u32_e32 v15, vcc, v2, v15, vcc
	global_load_dword v2, v[14:15], off
	s_mov_b64 s[18:19], 0
	s_waitcnt vmcnt(0)
	v_cmp_class_f16_e64 s[20:21], v2, s27
	s_and_saveexec_b64 s[16:17], s[20:21]
	s_cbranch_execz .LBB10_15
; %bb.10:                               ;   in Loop: Header=BB10_5 Depth=1
	v_cmp_class_f16_sdwa s[22:23], v2, s27 src0_sel:WORD_1 src1_sel:DWORD
	s_mov_b64 s[20:21], 0
	s_and_saveexec_b64 s[18:19], s[22:23]
	s_cbranch_execz .LBB10_14
; %bb.11:                               ;   in Loop: Header=BB10_5 Depth=1
	v_add_u32_e32 v4, s13, v4
	v_ashrrev_i32_e32 v5, 31, v4
	v_lshlrev_b64 v[4:5], 2, v[4:5]
	v_mov_b32_e32 v2, s26
	v_add_co_u32_e32 v4, vcc, s25, v4
	v_addc_co_u32_e32 v5, vcc, v2, v5, vcc
	global_load_dword v2, v[4:5], off
	s_waitcnt vmcnt(0)
	v_cmp_class_f16_e64 s[34:35], v2, s27
	s_and_saveexec_b64 s[22:23], s[34:35]
; %bb.12:                               ;   in Loop: Header=BB10_5 Depth=1
	v_cmp_class_f16_sdwa s[20:21], v2, s27 src0_sel:WORD_1 src1_sel:DWORD
	s_and_b64 s[20:21], s[20:21], exec
; %bb.13:                               ;   in Loop: Header=BB10_5 Depth=1
	s_or_b64 exec, exec, s[22:23]
	s_and_b64 s[20:21], s[20:21], exec
.LBB10_14:                              ;   in Loop: Header=BB10_5 Depth=1
	s_or_b64 exec, exec, s[18:19]
	s_and_b64 s[18:19], s[20:21], exec
.LBB10_15:                              ;   in Loop: Header=BB10_5 Depth=1
	s_or_b64 exec, exec, s[16:17]
	s_and_b64 s[16:17], s[18:19], exec
.LBB10_16:                              ;   in Loop: Header=BB10_5 Depth=1
	s_or_b64 exec, exec, s[14:15]
	s_and_b64 s[14:15], s[16:17], exec
.LBB10_17:                              ;   in Loop: Header=BB10_5 Depth=1
	s_or_b64 exec, exec, s[8:9]
	s_and_b64 s[8:9], s[14:15], exec
.LBB10_18:                              ;   in Loop: Header=BB10_5 Depth=1
	s_or_b64 exec, exec, s[2:3]
	v_cmp_lt_i32_e32 vcc, v9, v8
	v_cndmask_b32_e32 v2, v7, v9, vcc
	v_cndmask_b32_e64 v4, 0, 1, s[8:9]
	v_lshlrev_b32_e32 v2, 2, v2
	ds_bpermute_b32 v4, v2, v4
	s_waitcnt lgkmcnt(0)
	v_cmp_ne_u32_e32 vcc, 0, v4
	s_and_b64 s[2:3], s[8:9], vcc
	v_cmp_lt_i32_e32 vcc, v10, v8
	v_cndmask_b32_e32 v4, v7, v10, vcc
	v_cndmask_b32_e64 v5, 0, 1, s[2:3]
	v_lshlrev_b32_e32 v4, 2, v4
	ds_bpermute_b32 v5, v4, v5
	s_waitcnt lgkmcnt(0)
	v_cmp_ne_u32_e32 vcc, 0, v5
	s_and_b64 s[2:3], vcc, s[2:3]
	v_cmp_lt_i32_e32 vcc, v11, v8
	v_cndmask_b32_e32 v5, v7, v11, vcc
	v_cndmask_b32_e64 v14, 0, 1, s[2:3]
	v_lshlrev_b32_e32 v5, 2, v5
	ds_bpermute_b32 v14, v5, v14
	s_waitcnt lgkmcnt(0)
	v_cmp_ne_u32_e32 vcc, 0, v14
	s_and_b64 s[2:3], vcc, s[2:3]
	;; [unrolled: 8-line block ×3, first 2 shown]
	v_cmp_lt_i32_e32 vcc, v13, v8
	v_cndmask_b32_e32 v15, v7, v13, vcc
	v_cndmask_b32_e64 v16, 0, 1, s[2:3]
	v_lshlrev_b32_e32 v15, 2, v15
	ds_bpermute_b32 v16, v15, v16
	s_and_saveexec_b64 s[8:9], s[0:1]
	s_cbranch_execz .LBB10_3
; %bb.19:                               ;   in Loop: Header=BB10_5 Depth=1
	s_waitcnt lgkmcnt(0)
	v_cmp_ne_u32_e32 vcc, 0, v16
	s_and_b64 s[2:3], vcc, s[2:3]
	v_cndmask_b32_e64 v16, 0, 1, s[2:3]
	ds_write_b32 v1, v16
	s_branch .LBB10_3
.LBB10_20:
	s_or_b64 exec, exec, s[4:5]
	v_cmp_eq_u32_e32 vcc, 0, v0
	s_and_saveexec_b64 s[0:1], vcc
	s_cbranch_execz .LBB10_22
; %bb.21:
	s_mul_i32 s0, s24, s7
	s_add_i32 s0, s0, s6
	s_ashr_i32 s1, s0, 31
	s_lshl_b64 s[0:1], s[0:1], 2
	s_add_u32 s0, s10, s0
	s_addc_u32 s1, s11, s1
	v_mov_b32_e32 v0, 0
	global_store_dword v0, v2, s[0:1]
.LBB10_22:
	s_endpgm
	.section	.rodata,"a",@progbits
	.p2align	6, 0x0
	.amdhsa_kernel _ZL25flash_attn_mask_to_KV_maxILi4EEvPK7__half2Piiii
		.amdhsa_group_segment_fixed_size 128
		.amdhsa_private_segment_fixed_size 0
		.amdhsa_kernarg_size 288
		.amdhsa_user_sgpr_count 6
		.amdhsa_user_sgpr_private_segment_buffer 1
		.amdhsa_user_sgpr_dispatch_ptr 0
		.amdhsa_user_sgpr_queue_ptr 0
		.amdhsa_user_sgpr_kernarg_segment_ptr 1
		.amdhsa_user_sgpr_dispatch_id 0
		.amdhsa_user_sgpr_flat_scratch_init 0
		.amdhsa_user_sgpr_kernarg_preload_length 0
		.amdhsa_user_sgpr_kernarg_preload_offset 0
		.amdhsa_user_sgpr_private_segment_size 0
		.amdhsa_uses_dynamic_stack 0
		.amdhsa_system_sgpr_private_segment_wavefront_offset 0
		.amdhsa_system_sgpr_workgroup_id_x 1
		.amdhsa_system_sgpr_workgroup_id_y 1
		.amdhsa_system_sgpr_workgroup_id_z 0
		.amdhsa_system_sgpr_workgroup_info 0
		.amdhsa_system_vgpr_workitem_id 0
		.amdhsa_next_free_vgpr 17
		.amdhsa_next_free_sgpr 36
		.amdhsa_accum_offset 20
		.amdhsa_reserve_vcc 1
		.amdhsa_reserve_flat_scratch 0
		.amdhsa_float_round_mode_32 0
		.amdhsa_float_round_mode_16_64 0
		.amdhsa_float_denorm_mode_32 3
		.amdhsa_float_denorm_mode_16_64 3
		.amdhsa_dx10_clamp 1
		.amdhsa_ieee_mode 1
		.amdhsa_fp16_overflow 0
		.amdhsa_tg_split 0
		.amdhsa_exception_fp_ieee_invalid_op 0
		.amdhsa_exception_fp_denorm_src 0
		.amdhsa_exception_fp_ieee_div_zero 0
		.amdhsa_exception_fp_ieee_overflow 0
		.amdhsa_exception_fp_ieee_underflow 0
		.amdhsa_exception_fp_ieee_inexact 0
		.amdhsa_exception_int_div_zero 0
	.end_amdhsa_kernel
	.section	.text._ZL25flash_attn_mask_to_KV_maxILi4EEvPK7__half2Piiii,"axG",@progbits,_ZL25flash_attn_mask_to_KV_maxILi4EEvPK7__half2Piiii,comdat
.Lfunc_end10:
	.size	_ZL25flash_attn_mask_to_KV_maxILi4EEvPK7__half2Piiii, .Lfunc_end10-_ZL25flash_attn_mask_to_KV_maxILi4EEvPK7__half2Piiii
                                        ; -- End function
	.section	.AMDGPU.csdata,"",@progbits
; Kernel info:
; codeLenInByte = 1040
; NumSgprs: 40
; NumVgprs: 17
; NumAgprs: 0
; TotalNumVgprs: 17
; ScratchSize: 0
; MemoryBound: 0
; FloatMode: 240
; IeeeMode: 1
; LDSByteSize: 128 bytes/workgroup (compile time only)
; SGPRBlocks: 4
; VGPRBlocks: 2
; NumSGPRsForWavesPerEU: 40
; NumVGPRsForWavesPerEU: 17
; AccumOffset: 20
; Occupancy: 8
; WaveLimiterHint : 0
; COMPUTE_PGM_RSRC2:SCRATCH_EN: 0
; COMPUTE_PGM_RSRC2:USER_SGPR: 6
; COMPUTE_PGM_RSRC2:TRAP_HANDLER: 0
; COMPUTE_PGM_RSRC2:TGID_X_EN: 1
; COMPUTE_PGM_RSRC2:TGID_Y_EN: 1
; COMPUTE_PGM_RSRC2:TGID_Z_EN: 0
; COMPUTE_PGM_RSRC2:TIDIG_COMP_CNT: 0
; COMPUTE_PGM_RSRC3_GFX90A:ACCUM_OFFSET: 4
; COMPUTE_PGM_RSRC3_GFX90A:TG_SPLIT: 0
	.section	.text._ZL33flash_attn_stream_k_fixup_uniformILi128ELi4ELi8EEvPfPK15HIP_vector_typeIfLj2EEiiiiiiS1_IjLj3EES5_S5_,"axG",@progbits,_ZL33flash_attn_stream_k_fixup_uniformILi128ELi4ELi8EEvPfPK15HIP_vector_typeIfLj2EEiiiiiiS1_IjLj3EES5_S5_,comdat
	.globl	_ZL33flash_attn_stream_k_fixup_uniformILi128ELi4ELi8EEvPfPK15HIP_vector_typeIfLj2EEiiiiiiS1_IjLj3EES5_S5_ ; -- Begin function _ZL33flash_attn_stream_k_fixup_uniformILi128ELi4ELi8EEvPfPK15HIP_vector_typeIfLj2EEiiiiiiS1_IjLj3EES5_S5_
	.p2align	8
	.type	_ZL33flash_attn_stream_k_fixup_uniformILi128ELi4ELi8EEvPfPK15HIP_vector_typeIfLj2EEiiiiiiS1_IjLj3EES5_S5_,@function
_ZL33flash_attn_stream_k_fixup_uniformILi128ELi4ELi8EEvPfPK15HIP_vector_typeIfLj2EEiiiiiiS1_IjLj3EES5_S5_: ; @_ZL33flash_attn_stream_k_fixup_uniformILi128ELi4ELi8EEvPfPK15HIP_vector_typeIfLj2EEiiiiiiS1_IjLj3EES5_S5_
; %bb.0:
	s_load_dwordx8 s[12:19], s[4:5], 0x1c
	s_load_dwordx2 s[10:11], s[4:5], 0x10
	s_load_dwordx4 s[0:3], s[4:5], 0x3c
	s_waitcnt lgkmcnt(0)
	s_mul_hi_u32 s9, s15, s6
	s_add_i32 s9, s6, s9
	s_lshr_b32 s9, s9, s16
	s_mul_i32 s15, s9, s17
	s_sub_i32 s15, s6, s15
	s_mul_hi_u32 s16, s15, s18
	s_add_i32 s16, s15, s16
	s_lshr_b32 s16, s16, s19
	s_mul_i32 s0, s16, s0
	s_sub_i32 s0, s15, s0
	s_mul_hi_u32 s1, s0, s1
	s_add_i32 s1, s0, s1
	s_lshr_b32 s1, s1, s2
	s_mul_i32 s2, s1, s3
	s_sub_i32 s17, s0, s2
	s_lshl_b32 s0, s17, 2
	s_lshl_b32 s15, s1, 3
	s_add_i32 s0, s0, s7
	s_cmp_lt_i32 s0, s10
	s_cselect_b64 s[0:1], -1, 0
	s_add_i32 s2, s15, s8
	s_cmp_lt_i32 s2, s13
	s_cselect_b64 s[2:3], -1, 0
	s_and_b64 s[0:1], s[0:1], s[2:3]
	s_andn2_b64 vcc, exec, s[0:1]
	s_cbranch_vccnz .LBB11_6
; %bb.1:
	s_load_dwordx4 s[0:3], s[4:5], 0x0
	s_mul_i32 s4, s9, s10
	s_add_i32 s4, s4, s7
	s_mul_i32 s4, s4, s11
	s_mul_i32 s16, s16, s13
	s_add_i32 s4, s4, s8
	s_add_i32 s4, s4, s16
	s_mul_i32 s5, s11, s17
	s_add_i32 s4, s4, s15
	s_lshl_b32 s5, s5, 9
	s_lshl_b32 s4, s4, 7
	s_add_i32 s5, s5, s4
	v_or_b32_e32 v2, s5, v0
	v_ashrrev_i32_e32 v3, 31, v2
	v_lshlrev_b64 v[2:3], 2, v[2:3]
	s_waitcnt lgkmcnt(0)
	v_mov_b32_e32 v1, s1
	v_add_co_u32_e32 v2, vcc, s0, v2
	v_addc_co_u32_e32 v3, vcc, v1, v3, vcc
	global_load_dword v8, v[2:3], off
	s_mul_i32 s9, s6, s14
	s_lshl_b32 s4, s7, 3
	s_add_i32 s11, s9, s14
	s_add_i32 s0, s4, s8
	s_lshl_b32 s1, s11, 5
	s_add_i32 s0, s0, s1
	s_sub_i32 s0, s0, 32
	s_ashr_i32 s1, s0, 31
	s_lshl_b64 s[0:1], s[0:1], 3
	s_add_u32 s0, s2, s0
	s_addc_u32 s1, s3, s1
	s_load_dword s5, s[0:1], 0x4
	s_add_i32 s10, s11, -2
	s_cmp_lt_i32 s10, s9
	s_cbranch_scc1 .LBB11_4
; %bb.2:
	s_lshl_b32 s16, s12, 7
	s_ashr_i32 s17, s16, 31
	s_lshl_b64 s[16:17], s[16:17], 2
	s_add_u32 s10, s2, s16
	s_addc_u32 s13, s3, s17
	s_add_i32 s6, s6, 1
	s_load_dword s0, s[0:1], 0x0
	s_mul_i32 s1, s14, s6
	s_lshl_b32 s7, s7, 10
	s_lshl_b32 s14, s8, 7
	;; [unrolled: 1-line block ×3, first 2 shown]
	s_add_i32 s7, s14, s7
	s_lshl_b32 s1, s1, 5
	s_add_i32 s7, s7, s6
	s_add_i32 s1, s8, s1
	s_lshl_b32 s6, s12, 5
	s_add_i32 s1, s1, s6
	v_or_b32_e32 v0, s7, v0
	s_add_i32 s1, s1, s4
	s_add_i32 s11, s11, -1
	v_add_u32_e32 v0, 0xffffe000, v0
	s_sub_i32 s4, s1, 64
	s_waitcnt lgkmcnt(0)
	v_mov_b32_e32 v7, s5
	v_mov_b32_e32 v6, s0
	;; [unrolled: 1-line block ×3, first 2 shown]
	s_mov_b32 s6, 0x3fb8aa3b
	s_mov_b32 s7, 0xc2ce8ed0
	;; [unrolled: 1-line block ×3, first 2 shown]
	v_mov_b32_e32 v5, 0x7f800000
	s_mov_b32 s12, 0xc1a00000
.LBB11_3:                               ; =>This Inner Loop Header: Depth=1
	v_ashrrev_i32_e32 v1, 31, v0
	v_lshlrev_b64 v[10:11], 2, v[0:1]
	v_add_co_u32_e32 v10, vcc, s10, v10
	v_addc_co_u32_e32 v11, vcc, v4, v11, vcc
	global_load_dword v1, v[10:11], off
	s_ashr_i32 s5, s4, 31
	s_lshl_b64 s[0:1], s[4:5], 3
	s_add_u32 s0, s2, s0
	s_addc_u32 s1, s3, s1
	s_load_dwordx2 s[14:15], s[0:1], 0x0
	s_waitcnt vmcnt(1)
	v_mov_b32_e32 v9, v8
	v_max_f32_e32 v8, v6, v6
	v_mov_b32_e32 v10, v7
	s_add_i32 s11, s11, -1
	s_waitcnt lgkmcnt(0)
	v_max_f32_e64 v7, s14, s14
	v_max_f32_e32 v7, v8, v7
	v_sub_f32_e32 v11, s14, v7
	v_sub_f32_e32 v8, v6, v7
	v_mul_f32_e32 v12, 0x3fb8aa3b, v11
	v_mov_b32_e32 v6, v7
	v_mul_f32_e32 v7, 0x3fb8aa3b, v8
	v_fma_f32 v15, v11, s6, -v12
	v_rndne_f32_e32 v16, v12
	v_fma_f32 v13, v8, s6, -v7
	v_rndne_f32_e32 v14, v7
	v_fmac_f32_e32 v15, 0x32a5705f, v11
	v_sub_f32_e32 v12, v12, v16
	v_fmac_f32_e32 v13, 0x32a5705f, v8
	v_sub_f32_e32 v7, v7, v14
	v_add_f32_e32 v12, v12, v15
	v_cvt_i32_f32_e32 v16, v16
	v_add_f32_e32 v7, v7, v13
	v_exp_f32_e32 v12, v12
	v_cvt_i32_f32_e32 v14, v14
	v_exp_f32_e32 v7, v7
	v_cmp_ngt_f32_e32 vcc, s7, v11
	v_ldexp_f32 v12, v12, v16
	v_cmp_ngt_f32_e64 s[0:1], s7, v8
	v_ldexp_f32 v7, v7, v14
	v_cndmask_b32_e32 v12, 0, v12, vcc
	v_cmp_nlt_f32_e32 vcc, s8, v11
	v_cndmask_b32_e64 v7, 0, v7, s[0:1]
	v_cmp_nlt_f32_e64 s[0:1], s8, v8
	v_cndmask_b32_e32 v12, v5, v12, vcc
	v_cmp_le_f32_e32 vcc, s12, v11
	v_cndmask_b32_e64 v7, v5, v7, s[0:1]
	v_cmp_le_f32_e64 s[0:1], s12, v8
	v_cndmask_b32_e32 v8, 0, v12, vcc
	s_sub_i32 s4, s4, 32
	v_cndmask_b32_e64 v11, 0, v7, s[0:1]
	v_mul_f32_e32 v7, s15, v8
	v_add_u32_e32 v0, 0xfffff000, v0
	s_cmp_le_i32 s11, s9
	v_fmac_f32_e32 v7, v10, v11
	s_waitcnt vmcnt(0)
	v_mul_f32_e32 v8, v1, v8
	v_fmac_f32_e32 v8, v9, v11
	s_cbranch_scc0 .LBB11_3
	s_branch .LBB11_5
.LBB11_4:
	s_waitcnt lgkmcnt(0)
	v_mov_b32_e32 v7, s5
.LBB11_5:
	s_waitcnt vmcnt(0)
	v_div_scale_f32 v0, s[0:1], v7, v7, v8
	v_rcp_f32_e32 v1, v0
	v_div_scale_f32 v4, vcc, v8, v7, v8
	v_fma_f32 v5, -v0, v1, 1.0
	v_fmac_f32_e32 v1, v5, v1
	v_mul_f32_e32 v5, v4, v1
	v_fma_f32 v6, -v0, v5, v4
	v_fmac_f32_e32 v5, v6, v1
	v_fma_f32 v0, -v0, v5, v4
	v_div_fmas_f32 v0, v0, v1, v5
	v_div_fixup_f32 v0, v0, v7, v8
	global_store_dword v[2:3], v0, off
.LBB11_6:
	s_endpgm
	.section	.rodata,"a",@progbits
	.p2align	6, 0x0
	.amdhsa_kernel _ZL33flash_attn_stream_k_fixup_uniformILi128ELi4ELi8EEvPfPK15HIP_vector_typeIfLj2EEiiiiiiS1_IjLj3EES5_S5_
		.amdhsa_group_segment_fixed_size 0
		.amdhsa_private_segment_fixed_size 0
		.amdhsa_kernarg_size 76
		.amdhsa_user_sgpr_count 6
		.amdhsa_user_sgpr_private_segment_buffer 1
		.amdhsa_user_sgpr_dispatch_ptr 0
		.amdhsa_user_sgpr_queue_ptr 0
		.amdhsa_user_sgpr_kernarg_segment_ptr 1
		.amdhsa_user_sgpr_dispatch_id 0
		.amdhsa_user_sgpr_flat_scratch_init 0
		.amdhsa_user_sgpr_kernarg_preload_length 0
		.amdhsa_user_sgpr_kernarg_preload_offset 0
		.amdhsa_user_sgpr_private_segment_size 0
		.amdhsa_uses_dynamic_stack 0
		.amdhsa_system_sgpr_private_segment_wavefront_offset 0
		.amdhsa_system_sgpr_workgroup_id_x 1
		.amdhsa_system_sgpr_workgroup_id_y 1
		.amdhsa_system_sgpr_workgroup_id_z 1
		.amdhsa_system_sgpr_workgroup_info 0
		.amdhsa_system_vgpr_workitem_id 0
		.amdhsa_next_free_vgpr 17
		.amdhsa_next_free_sgpr 20
		.amdhsa_accum_offset 20
		.amdhsa_reserve_vcc 1
		.amdhsa_reserve_flat_scratch 0
		.amdhsa_float_round_mode_32 0
		.amdhsa_float_round_mode_16_64 0
		.amdhsa_float_denorm_mode_32 3
		.amdhsa_float_denorm_mode_16_64 3
		.amdhsa_dx10_clamp 1
		.amdhsa_ieee_mode 1
		.amdhsa_fp16_overflow 0
		.amdhsa_tg_split 0
		.amdhsa_exception_fp_ieee_invalid_op 0
		.amdhsa_exception_fp_denorm_src 0
		.amdhsa_exception_fp_ieee_div_zero 0
		.amdhsa_exception_fp_ieee_overflow 0
		.amdhsa_exception_fp_ieee_underflow 0
		.amdhsa_exception_fp_ieee_inexact 0
		.amdhsa_exception_int_div_zero 0
	.end_amdhsa_kernel
	.section	.text._ZL33flash_attn_stream_k_fixup_uniformILi128ELi4ELi8EEvPfPK15HIP_vector_typeIfLj2EEiiiiiiS1_IjLj3EES5_S5_,"axG",@progbits,_ZL33flash_attn_stream_k_fixup_uniformILi128ELi4ELi8EEvPfPK15HIP_vector_typeIfLj2EEiiiiiiS1_IjLj3EES5_S5_,comdat
.Lfunc_end11:
	.size	_ZL33flash_attn_stream_k_fixup_uniformILi128ELi4ELi8EEvPfPK15HIP_vector_typeIfLj2EEiiiiiiS1_IjLj3EES5_S5_, .Lfunc_end11-_ZL33flash_attn_stream_k_fixup_uniformILi128ELi4ELi8EEvPfPK15HIP_vector_typeIfLj2EEiiiiiiS1_IjLj3EES5_S5_
                                        ; -- End function
	.section	.AMDGPU.csdata,"",@progbits
; Kernel info:
; codeLenInByte = 856
; NumSgprs: 24
; NumVgprs: 17
; NumAgprs: 0
; TotalNumVgprs: 17
; ScratchSize: 0
; MemoryBound: 0
; FloatMode: 240
; IeeeMode: 1
; LDSByteSize: 0 bytes/workgroup (compile time only)
; SGPRBlocks: 2
; VGPRBlocks: 2
; NumSGPRsForWavesPerEU: 24
; NumVGPRsForWavesPerEU: 17
; AccumOffset: 20
; Occupancy: 8
; WaveLimiterHint : 0
; COMPUTE_PGM_RSRC2:SCRATCH_EN: 0
; COMPUTE_PGM_RSRC2:USER_SGPR: 6
; COMPUTE_PGM_RSRC2:TRAP_HANDLER: 0
; COMPUTE_PGM_RSRC2:TGID_X_EN: 1
; COMPUTE_PGM_RSRC2:TGID_Y_EN: 1
; COMPUTE_PGM_RSRC2:TGID_Z_EN: 1
; COMPUTE_PGM_RSRC2:TIDIG_COMP_CNT: 0
; COMPUTE_PGM_RSRC3_GFX90A:ACCUM_OFFSET: 4
; COMPUTE_PGM_RSRC3_GFX90A:TG_SPLIT: 0
	.section	.text._ZL33flash_attn_stream_k_fixup_generalILi128ELi4ELi8EEvPfPK15HIP_vector_typeIfLj2EEiiiiS1_IjLj3EES5_S5_S5_,"axG",@progbits,_ZL33flash_attn_stream_k_fixup_generalILi128ELi4ELi8EEvPfPK15HIP_vector_typeIfLj2EEiiiiS1_IjLj3EES5_S5_S5_,comdat
	.globl	_ZL33flash_attn_stream_k_fixup_generalILi128ELi4ELi8EEvPfPK15HIP_vector_typeIfLj2EEiiiiS1_IjLj3EES5_S5_S5_ ; -- Begin function _ZL33flash_attn_stream_k_fixup_generalILi128ELi4ELi8EEvPfPK15HIP_vector_typeIfLj2EEiiiiS1_IjLj3EES5_S5_S5_
	.p2align	8
	.type	_ZL33flash_attn_stream_k_fixup_generalILi128ELi4ELi8EEvPfPK15HIP_vector_typeIfLj2EEiiiiS1_IjLj3EES5_S5_S5_,@function
_ZL33flash_attn_stream_k_fixup_generalILi128ELi4ELi8EEvPfPK15HIP_vector_typeIfLj2EEiiiiS1_IjLj3EES5_S5_S5_: ; @_ZL33flash_attn_stream_k_fixup_generalILi128ELi4ELi8EEvPfPK15HIP_vector_typeIfLj2EEiiiiS1_IjLj3EES5_S5_S5_
; %bb.0:
	s_load_dwordx4 s[12:15], s[4:5], 0x10
	s_load_dword s9, s[4:5], 0x50
	s_mov_b32 s2, 0
	s_waitcnt lgkmcnt(0)
	s_mul_hi_i32 s3, s15, s6
	s_cmp_lg_u64 s[2:3], 0
	s_mul_i32 s2, s15, s6
	s_cbranch_scc0 .LBB12_21
; %bb.1:
	v_cvt_f32_u32_e32 v1, s9
	v_cvt_f32_ubyte0_e32 v2, 0
	s_sub_u32 s10, 0, s9
	s_subb_u32 s11, 0, 0
	v_madmk_f32 v1, v2, 0x4f800000, v1
	v_rcp_f32_e32 v1, v1
	v_mul_f32_e32 v1, 0x5f7ffffc, v1
	v_mul_f32_e32 v2, 0x2f800000, v1
	v_trunc_f32_e32 v2, v2
	v_madmk_f32 v1, v2, 0xcf800000, v1
	v_cvt_u32_f32_e32 v2, v2
	v_cvt_u32_f32_e32 v1, v1
	v_readfirstlane_b32 s16, v2
	v_readfirstlane_b32 s17, v1
	s_mul_i32 s18, s10, s16
	s_mul_hi_u32 s20, s10, s17
	s_mul_i32 s19, s11, s17
	s_add_i32 s18, s20, s18
	s_add_i32 s18, s18, s19
	s_mul_i32 s21, s10, s17
	s_mul_hi_u32 s19, s17, s18
	s_mul_i32 s20, s17, s18
	s_mul_hi_u32 s17, s17, s21
	s_add_u32 s17, s17, s20
	s_addc_u32 s19, 0, s19
	s_mul_hi_u32 s22, s16, s21
	s_mul_i32 s21, s16, s21
	s_add_u32 s17, s17, s21
	s_mul_hi_u32 s20, s16, s18
	s_addc_u32 s17, s19, s22
	s_addc_u32 s19, s20, 0
	s_mul_i32 s18, s16, s18
	s_add_u32 s17, s17, s18
	s_addc_u32 s18, 0, s19
	v_add_co_u32_e32 v1, vcc, s17, v1
	s_cmp_lg_u64 vcc, 0
	s_addc_u32 s16, s16, s18
	v_readfirstlane_b32 s18, v1
	s_mul_i32 s17, s10, s16
	s_mul_hi_u32 s19, s10, s18
	s_add_i32 s17, s19, s17
	s_mul_i32 s11, s11, s18
	s_add_i32 s17, s17, s11
	s_mul_i32 s10, s10, s18
	s_mul_hi_u32 s19, s16, s10
	s_mul_i32 s20, s16, s10
	s_mul_i32 s22, s18, s17
	s_mul_hi_u32 s10, s18, s10
	s_mul_hi_u32 s21, s18, s17
	s_add_u32 s10, s10, s22
	s_addc_u32 s18, 0, s21
	s_add_u32 s10, s10, s20
	s_mul_hi_u32 s11, s16, s17
	s_addc_u32 s10, s18, s19
	s_addc_u32 s11, s11, 0
	s_mul_i32 s17, s16, s17
	s_add_u32 s10, s10, s17
	s_addc_u32 s11, 0, s11
	v_add_co_u32_e32 v1, vcc, s10, v1
	s_cmp_lg_u64 vcc, 0
	s_addc_u32 s18, s16, s11
	s_ashr_i32 s10, s3, 31
	s_add_u32 s16, s2, s10
	s_mov_b32 s11, s10
	s_addc_u32 s17, s3, s10
	s_xor_b64 s[16:17], s[16:17], s[10:11]
	v_readfirstlane_b32 s20, v1
	s_mul_i32 s19, s16, s18
	s_mul_hi_u32 s21, s16, s20
	s_mul_hi_u32 s3, s16, s18
	s_add_u32 s19, s21, s19
	s_addc_u32 s3, 0, s3
	s_mul_hi_u32 s22, s17, s20
	s_mul_i32 s20, s17, s20
	s_add_u32 s19, s19, s20
	s_mul_hi_u32 s21, s17, s18
	s_addc_u32 s3, s3, s22
	s_addc_u32 s19, s21, 0
	s_mul_i32 s18, s17, s18
	s_add_u32 s3, s3, s18
	s_addc_u32 s18, 0, s19
	s_add_u32 s19, s3, 1
	s_addc_u32 s20, s18, 0
	s_add_u32 s21, s3, 2
	s_mul_i32 s23, s9, s18
	s_mul_hi_u32 s24, s9, s3
	s_addc_u32 s22, s18, 0
	s_add_i32 s24, s24, s23
	s_mul_i32 s23, s9, s3
	v_mov_b32_e32 v1, s23
	v_sub_co_u32_e32 v1, vcc, s16, v1
	s_cmp_lg_u64 vcc, 0
	s_subb_u32 s16, s17, s24
	v_subrev_co_u32_e32 v2, vcc, s9, v1
	s_cmp_lg_u64 vcc, 0
	s_subb_u32 s17, s16, 0
	v_readfirstlane_b32 s23, v2
	s_cmp_ge_u32 s23, s9
	s_cselect_b32 s23, -1, 0
	s_cmp_eq_u32 s17, 0
	s_cselect_b32 s17, s23, -1
	s_cmp_lg_u32 s17, 0
	s_cselect_b32 s17, s22, s20
	v_readfirstlane_b32 s20, v1
	s_cselect_b32 s19, s21, s19
	s_cmp_ge_u32 s20, s9
	s_cselect_b32 s20, -1, 0
	s_cmp_eq_u32 s16, 0
	s_cselect_b32 s16, s20, -1
	s_cmp_lg_u32 s16, 0
	s_cselect_b32 s17, s17, s18
	s_cselect_b32 s16, s19, s3
	s_xor_b64 s[16:17], s[16:17], s[10:11]
	s_sub_u32 s20, s16, s10
	s_load_dwordx4 s[16:19], s[4:5], 0x44
	s_cbranch_execnz .LBB12_3
.LBB12_2:
	v_cvt_f32_u32_e32 v1, s9
	s_sub_i32 s0, 0, s9
	v_rcp_iflag_f32_e32 v1, v1
	v_mul_f32_e32 v1, 0x4f7ffffe, v1
	v_cvt_u32_f32_e32 v1, v1
	v_readfirstlane_b32 s1, v1
	s_mul_i32 s0, s0, s1
	s_mul_hi_u32 s0, s1, s0
	s_add_i32 s1, s1, s0
	s_mul_hi_u32 s0, s2, s1
	s_mul_i32 s3, s0, s9
	s_sub_i32 s2, s2, s3
	s_add_i32 s1, s0, 1
	s_sub_i32 s3, s2, s9
	s_cmp_ge_u32 s2, s9
	s_cselect_b32 s0, s1, s0
	s_cselect_b32 s2, s3, s2
	s_add_i32 s1, s0, 1
	s_cmp_ge_u32 s2, s9
	s_cselect_b32 s20, s1, s0
.LBB12_3:
	s_add_i32 s0, s6, 1
	s_mul_hi_i32 s3, s15, s0
	s_mov_b32 s2, 0
	s_cmp_lg_u64 s[2:3], 0
	s_mul_i32 s2, s15, s0
	s_cbranch_scc0 .LBB12_22
; %bb.4:
	v_cvt_f32_u32_e32 v1, s9
	v_cvt_f32_ubyte0_e32 v2, 0
	s_sub_u32 s10, 0, s9
	s_subb_u32 s11, 0, 0
	v_madmk_f32 v1, v2, 0x4f800000, v1
	v_rcp_f32_e32 v1, v1
	v_mul_f32_e32 v1, 0x5f7ffffc, v1
	v_mul_f32_e32 v2, 0x2f800000, v1
	v_trunc_f32_e32 v2, v2
	v_madmk_f32 v1, v2, 0xcf800000, v1
	v_cvt_u32_f32_e32 v2, v2
	v_cvt_u32_f32_e32 v1, v1
	s_waitcnt lgkmcnt(0)
	v_readfirstlane_b32 s19, v2
	v_readfirstlane_b32 s21, v1
	s_mul_i32 s22, s10, s19
	s_mul_hi_u32 s24, s10, s21
	s_mul_i32 s23, s11, s21
	s_add_i32 s22, s24, s22
	s_add_i32 s22, s22, s23
	s_mul_i32 s25, s10, s21
	s_mul_hi_u32 s23, s21, s22
	s_mul_i32 s24, s21, s22
	s_mul_hi_u32 s21, s21, s25
	s_add_u32 s21, s21, s24
	s_addc_u32 s23, 0, s23
	s_mul_hi_u32 s26, s19, s25
	s_mul_i32 s25, s19, s25
	s_add_u32 s21, s21, s25
	s_mul_hi_u32 s24, s19, s22
	s_addc_u32 s21, s23, s26
	s_addc_u32 s23, s24, 0
	s_mul_i32 s22, s19, s22
	s_add_u32 s21, s21, s22
	s_addc_u32 s22, 0, s23
	v_add_co_u32_e32 v1, vcc, s21, v1
	s_cmp_lg_u64 vcc, 0
	s_addc_u32 s19, s19, s22
	v_readfirstlane_b32 s22, v1
	s_mul_i32 s21, s10, s19
	s_mul_hi_u32 s23, s10, s22
	s_add_i32 s21, s23, s21
	s_mul_i32 s11, s11, s22
	s_add_i32 s21, s21, s11
	s_mul_i32 s10, s10, s22
	s_mul_hi_u32 s23, s19, s10
	s_mul_i32 s24, s19, s10
	s_mul_i32 s26, s22, s21
	s_mul_hi_u32 s10, s22, s10
	s_mul_hi_u32 s25, s22, s21
	s_add_u32 s10, s10, s26
	s_addc_u32 s22, 0, s25
	s_add_u32 s10, s10, s24
	s_mul_hi_u32 s11, s19, s21
	s_addc_u32 s10, s22, s23
	s_addc_u32 s11, s11, 0
	s_mul_i32 s21, s19, s21
	s_add_u32 s10, s10, s21
	s_addc_u32 s11, 0, s11
	v_add_co_u32_e32 v1, vcc, s10, v1
	s_cmp_lg_u64 vcc, 0
	s_addc_u32 s19, s19, s11
	s_ashr_i32 s10, s3, 31
	s_add_u32 s22, s2, s10
	s_mov_b32 s11, s10
	s_addc_u32 s23, s3, s10
	s_xor_b64 s[22:23], s[22:23], s[10:11]
	v_readfirstlane_b32 s21, v1
	s_mul_i32 s11, s22, s19
	s_mul_hi_u32 s24, s22, s21
	s_mul_hi_u32 s3, s22, s19
	s_add_u32 s11, s24, s11
	s_addc_u32 s3, 0, s3
	s_mul_hi_u32 s25, s23, s21
	s_mul_i32 s21, s23, s21
	s_add_u32 s11, s11, s21
	s_mul_hi_u32 s24, s23, s19
	s_addc_u32 s3, s3, s25
	s_addc_u32 s11, s24, 0
	s_mul_i32 s19, s23, s19
	s_add_u32 s3, s3, s19
	s_addc_u32 s11, 0, s11
	s_mul_i32 s11, s9, s11
	s_mul_hi_u32 s24, s9, s3
	s_add_i32 s24, s24, s11
	s_mul_i32 s11, s9, s3
	v_mov_b32_e32 v1, s11
	s_add_u32 s19, s3, 1
	s_add_u32 s21, s3, 2
	v_sub_co_u32_e32 v1, vcc, s22, v1
	s_cmp_lg_u64 vcc, 0
	s_subb_u32 s11, s23, s24
	v_subrev_co_u32_e32 v2, vcc, s9, v1
	s_cmp_lg_u64 vcc, 0
	s_subb_u32 s22, s11, 0
	v_cmp_le_u32_e32 vcc, s9, v2
	s_cmp_eq_u32 s22, 0
	v_cndmask_b32_e64 v2, 0, -1, vcc
	s_cselect_b64 vcc, -1, 0
	v_cndmask_b32_e32 v2, -1, v2, vcc
	v_mov_b32_e32 v3, s19
	v_mov_b32_e32 v4, s21
	v_cmp_ne_u32_e32 vcc, 0, v2
	v_cndmask_b32_e32 v2, v3, v4, vcc
	v_cmp_le_u32_e32 vcc, s9, v1
	s_cmp_eq_u32 s11, 0
	v_cndmask_b32_e64 v1, 0, -1, vcc
	s_cselect_b64 vcc, -1, 0
	v_cndmask_b32_e32 v1, -1, v1, vcc
	v_mov_b32_e32 v3, s3
	v_cmp_ne_u32_e32 vcc, 0, v1
	v_cndmask_b32_e32 v1, v3, v2, vcc
	v_xor_b32_e32 v1, s10, v1
	v_subrev_co_u32_e32 v2, vcc, s10, v1
	s_cbranch_execnz .LBB12_6
.LBB12_5:
	v_cvt_f32_u32_e32 v1, s9
	s_sub_i32 s0, 0, s9
	s_mov_b32 s1, 0
	v_rcp_iflag_f32_e32 v1, v1
	v_mul_f32_e32 v1, 0x4f7ffffe, v1
	v_cvt_u32_f32_e32 v1, v1
	v_readfirstlane_b32 s3, v1
	s_mul_i32 s0, s0, s3
	s_mul_hi_u32 s0, s3, s0
	s_add_i32 s3, s3, s0
	s_mul_hi_u32 s0, s2, s3
	s_mul_i32 s10, s0, s9
	s_sub_i32 s2, s2, s10
	s_add_i32 s3, s0, 1
	s_sub_i32 s10, s2, s9
	s_cmp_ge_u32 s2, s9
	s_cselect_b32 s0, s3, s0
	s_cselect_b32 s2, s10, s2
	s_add_i32 s3, s0, 1
	s_cmp_ge_u32 s2, s9
	s_cselect_b32 s0, s3, s0
	v_pk_mov_b32 v[2:3], s[0:1], s[0:1] op_sel:[0,1]
.LBB12_6:
	s_waitcnt lgkmcnt(0)
	s_mul_hi_u32 s0, s20, s16
	s_add_i32 s0, s0, s20
	v_mul_hi_u32 v1, v2, s16
	s_lshr_b32 s19, s0, s17
	v_add_u32_e32 v1, v1, v2
	s_mul_i32 s0, s19, s18
	v_lshrrev_b32_e32 v1, s17, v1
	s_cmp_eq_u32 s0, s20
	v_cmp_eq_u32_e64 s[0:1], s19, v1
	v_mul_lo_u32 v1, v1, s18
	v_cmp_eq_u32_e32 vcc, s20, v2
	s_cselect_b64 s[10:11], -1, 0
	v_cmp_ne_u32_e64 s[2:3], v1, v2
	s_and_b64 s[0:1], s[0:1], s[2:3]
	s_or_b64 s[2:3], vcc, s[10:11]
	s_or_b64 s[0:1], s[2:3], s[0:1]
	s_and_b64 vcc, exec, s[0:1]
	s_cbranch_vccnz .LBB12_24
; %bb.7:
	s_load_dwordx8 s[24:31], s[4:5], 0x20
	s_load_dword s0, s[4:5], 0x40
	s_mov_b32 s10, 0
	s_waitcnt lgkmcnt(0)
	s_mul_hi_u32 s1, s20, s24
	s_add_i32 s1, s1, s20
	s_lshr_b32 s11, s1, s25
	s_mul_i32 s1, s11, s26
	s_sub_i32 s1, s20, s1
	s_mul_hi_u32 s2, s1, s27
	s_add_i32 s2, s1, s2
	s_lshr_b32 s24, s2, s28
	s_mul_i32 s2, s24, s29
	s_sub_i32 s1, s1, s2
	;; [unrolled: 5-line block ×3, first 2 shown]
	s_mul_hi_u32 s1, s0, s16
	s_add_i32 s0, s0, s1
	s_lshr_b32 s26, s0, s17
	s_lshl_b32 s0, s26, 2
	s_lshl_b32 s25, s2, 3
	s_add_i32 s0, s0, s7
	s_cmp_lt_i32 s0, s12
	s_cselect_b64 s[0:1], -1, 0
	s_add_i32 s2, s25, s8
	s_cmp_lt_i32 s2, s14
	s_cselect_b64 s[2:3], -1, 0
	s_and_b64 s[0:1], s[0:1], s[2:3]
	s_andn2_b64 vcc, exec, s[0:1]
	s_cbranch_vccnz .LBB12_24
; %bb.8:
	s_load_dwordx4 s[0:3], s[4:5], 0x0
	s_lshl_b32 s21, s7, 3
	s_lshl_b32 s4, s9, 7
	s_mov_b32 s5, s10
	s_add_i32 s21, s21, s8
	s_lshl_b64 s[4:5], s[4:5], 2
	s_waitcnt lgkmcnt(0)
	s_add_u32 s22, s2, s4
	s_mul_i32 s4, s11, s12
	s_addc_u32 s23, s3, s5
	s_add_i32 s4, s4, s7
	s_mul_i32 s4, s4, s13
	s_mul_i32 s24, s24, s14
	s_add_i32 s4, s4, s8
	s_add_i32 s4, s4, s24
	s_mul_i32 s5, s13, s26
	s_add_i32 s4, s4, s25
	s_lshl_b32 s5, s5, 9
	s_lshl_b32 s4, s4, 7
	s_add_i32 s5, s5, s4
	v_or_b32_e32 v2, s5, v0
	v_ashrrev_i32_e32 v3, 31, v2
	v_lshlrev_b64 v[2:3], 2, v[2:3]
	v_mov_b32_e32 v1, s1
	v_add_co_u32_e32 v2, vcc, s0, v2
	v_addc_co_u32_e32 v3, vcc, v1, v3, vcc
	global_load_dword v5, v[2:3], off
	v_lshl_or_b32 v4, s21, 7, v0
	v_cvt_f32_u32_e32 v0, s9
	v_cvt_f32_ubyte0_e32 v1, 0
	s_lshl_b32 s0, s6, 5
	s_add_i32 s0, s21, s0
	v_mac_f32_e32 v0, 0x4f800000, v1
	v_rcp_f32_e32 v0, v0
	v_cvt_f32_u32_e32 v1, s9
	s_ashr_i32 s1, s0, 31
	s_lshl_b64 s[0:1], s[0:1], 3
	v_mul_f32_e32 v0, 0x5f7ffffc, v0
	v_rcp_iflag_f32_e32 v1, v1
	s_add_u32 s0, s2, s0
	v_mul_f32_e32 v9, 0x2f800000, v0
	s_addc_u32 s1, s3, s1
	v_trunc_f32_e32 v10, v9
	s_load_dwordx2 s[0:1], s[0:1], 0x0
	v_mac_f32_e32 v0, 0xcf800000, v10
	v_cvt_u32_f32_e32 v9, v0
	v_mul_f32_e32 v0, 0x4f7ffffe, v1
	v_cvt_u32_f32_e32 v10, v10
	v_cvt_u32_f32_e32 v11, v0
	s_add_i32 s8, s6, -1
	s_waitcnt lgkmcnt(0)
	v_mov_b32_e32 v6, s1
	v_mov_b32_e32 v7, s0
	;; [unrolled: 1-line block ×3, first 2 shown]
	s_mov_b32 s6, 0x3fb8aa3b
	s_mov_b32 s7, 0xc2ce8ed0
	;; [unrolled: 1-line block ×4, first 2 shown]
	v_mov_b32_e32 v12, 0x7f800000
	s_mul_hi_i32 s11, s8, s15
	s_cmp_lg_u64 s[10:11], 0
	s_mul_i32 s4, s8, s15
	s_cbranch_scc0 .LBB12_15
.LBB12_9:
	s_sub_u32 s0, 0, s9
	v_readfirstlane_b32 s5, v9
	v_readfirstlane_b32 s24, v10
	s_subb_u32 s1, 0, 0
	s_mul_hi_u32 s20, s0, s5
	s_mul_i32 s25, s0, s24
	s_mul_i32 s14, s1, s5
	s_add_i32 s20, s20, s25
	s_add_i32 s20, s20, s14
	s_mul_i32 s26, s0, s5
	s_mul_hi_u32 s14, s5, s20
	s_mul_i32 s25, s5, s20
	s_mul_hi_u32 s5, s5, s26
	s_add_u32 s5, s5, s25
	s_addc_u32 s14, 0, s14
	s_mul_hi_u32 s27, s24, s26
	s_mul_i32 s26, s24, s26
	s_add_u32 s5, s5, s26
	s_mul_hi_u32 s25, s24, s20
	s_addc_u32 s5, s14, s27
	s_addc_u32 s14, s25, 0
	s_mul_i32 s20, s24, s20
	s_add_u32 s5, s5, s20
	s_addc_u32 s14, 0, s14
	v_add_co_u32_e32 v0, vcc, s5, v9
	s_cmp_lg_u64 vcc, 0
	s_addc_u32 s5, s24, s14
	v_readfirstlane_b32 s20, v0
	s_mul_i32 s14, s0, s5
	s_mul_hi_u32 s24, s0, s20
	s_add_i32 s14, s24, s14
	s_mul_i32 s1, s1, s20
	s_add_i32 s14, s14, s1
	s_mul_i32 s0, s0, s20
	s_mul_hi_u32 s24, s5, s0
	s_mul_i32 s25, s5, s0
	s_mul_i32 s27, s20, s14
	s_mul_hi_u32 s0, s20, s0
	s_mul_hi_u32 s26, s20, s14
	s_add_u32 s0, s0, s27
	s_addc_u32 s20, 0, s26
	s_add_u32 s0, s0, s25
	s_mul_hi_u32 s1, s5, s14
	s_addc_u32 s0, s20, s24
	s_addc_u32 s1, s1, 0
	s_mul_i32 s14, s5, s14
	s_add_u32 s0, s0, s14
	s_addc_u32 s1, 0, s1
	v_add_co_u32_e32 v0, vcc, s0, v0
	s_cmp_lg_u64 vcc, 0
	s_addc_u32 s5, s5, s1
	s_ashr_i32 s0, s11, 31
	s_add_u32 s24, s4, s0
	s_mov_b32 s1, s0
	s_addc_u32 s25, s11, s0
	s_xor_b64 s[24:25], s[24:25], s[0:1]
	v_readfirstlane_b32 s14, v0
	s_mul_i32 s11, s24, s5
	s_mul_hi_u32 s20, s24, s14
	s_mul_hi_u32 s1, s24, s5
	s_add_u32 s11, s20, s11
	s_addc_u32 s1, 0, s1
	s_mul_hi_u32 s26, s25, s14
	s_mul_i32 s14, s25, s14
	s_add_u32 s11, s11, s14
	s_mul_hi_u32 s20, s25, s5
	s_addc_u32 s1, s1, s26
	s_addc_u32 s11, s20, 0
	s_mul_i32 s5, s25, s5
	s_add_u32 s1, s1, s5
	s_addc_u32 s5, 0, s11
	s_mul_i32 s5, s9, s5
	s_mul_hi_u32 s20, s9, s1
	s_add_i32 s20, s20, s5
	s_mul_i32 s5, s9, s1
	v_mov_b32_e32 v0, s5
	s_add_u32 s11, s1, 1
	s_add_u32 s14, s1, 2
	v_sub_co_u32_e32 v0, vcc, s24, v0
	s_cmp_lg_u64 vcc, 0
	s_subb_u32 s5, s25, s20
	v_subrev_co_u32_e32 v1, vcc, s9, v0
	s_cmp_lg_u64 vcc, 0
	s_subb_u32 s20, s5, 0
	v_cmp_le_u32_e32 vcc, s9, v1
	s_cmp_eq_u32 s20, 0
	v_cndmask_b32_e64 v1, 0, -1, vcc
	s_cselect_b64 vcc, -1, 0
	v_cndmask_b32_e32 v1, -1, v1, vcc
	v_mov_b32_e32 v13, s11
	v_mov_b32_e32 v14, s14
	v_cmp_ne_u32_e32 vcc, 0, v1
	v_cndmask_b32_e32 v1, v13, v14, vcc
	v_cmp_le_u32_e32 vcc, s9, v0
	s_cmp_eq_u32 s5, 0
	v_cndmask_b32_e64 v0, 0, -1, vcc
	s_cselect_b64 vcc, -1, 0
	v_cndmask_b32_e32 v0, -1, v0, vcc
	v_mov_b32_e32 v13, s1
	v_cmp_ne_u32_e32 vcc, 0, v0
	v_cndmask_b32_e32 v0, v13, v1, vcc
	v_xor_b32_e32 v0, s0, v0
	v_subrev_co_u32_e32 v0, vcc, s0, v0
	s_cbranch_execnz .LBB12_11
.LBB12_10:
	s_sub_i32 s0, 0, s9
	v_mul_lo_u32 v0, s0, v11
	v_mul_hi_u32 v0, v11, v0
	v_add_u32_e32 v0, v11, v0
	v_mul_hi_u32 v0, s4, v0
	v_mul_lo_u32 v13, v0, s9
	v_sub_u32_e32 v13, s4, v13
	v_add_u32_e32 v1, 1, v0
	v_subrev_u32_e32 v14, s9, v13
	v_cmp_le_u32_e32 vcc, s9, v13
	v_cndmask_b32_e32 v13, v13, v14, vcc
	v_cndmask_b32_e32 v0, v0, v1, vcc
	v_add_u32_e32 v1, 1, v0
	v_cmp_le_u32_e32 vcc, s9, v13
	v_cndmask_b32_e32 v0, v0, v1, vcc
.LBB12_11:
	v_cmp_ne_u32_e32 vcc, v8, v0
	s_cbranch_vccz .LBB12_14
; %bb.12:
	s_add_i32 s0, s8, s9
	s_lshl_b32 s0, s0, 5
	v_mul_hi_u32 v1, v0, s16
	s_add_i32 s0, s0, s21
	s_mov_b32 s1, s10
	v_add_u32_e32 v1, v1, v0
	s_lshl_b64 s[0:1], s[0:1], 3
	v_lshrrev_b32_e32 v1, s17, v1
	s_add_u32 s4, s2, s0
	v_mul_lo_u32 v13, v1, s18
	s_addc_u32 s5, s3, s1
	v_cmp_eq_u32_e32 vcc, v13, v0
	v_cmp_gt_u32_e64 s[0:1], s19, v1
	s_or_b64 s[0:1], s[0:1], vcc
	s_and_b64 vcc, exec, s[0:1]
	s_cbranch_vccnz .LBB12_16
; %bb.13:
	s_add_i32 s11, s8, -1
	s_mov_b64 s[0:1], 0
	s_branch .LBB12_17
.LBB12_14:
                                        ; implicit-def: $sgpr0_sgpr1
                                        ; implicit-def: $vgpr14
                                        ; implicit-def: $vgpr1
                                        ; implicit-def: $vgpr13
                                        ; implicit-def: $sgpr11
                                        ; implicit-def: $vgpr0
	s_branch .LBB12_18
.LBB12_15:
                                        ; implicit-def: $vgpr0_vgpr1
	s_branch .LBB12_10
.LBB12_16:
	s_mov_b64 s[0:1], -1
	s_mov_b32 s11, s8
	v_mov_b32_e32 v0, v8
.LBB12_17:
	v_lshl_add_u32 v14, s8, 12, v4
	v_ashrrev_i32_e32 v15, 31, v14
	v_lshlrev_b64 v[14:15], 2, v[14:15]
	v_mov_b32_e32 v1, s23
	v_add_co_u32_e32 v14, vcc, s22, v14
	v_addc_co_u32_e32 v15, vcc, v1, v15, vcc
	global_load_dword v14, v[14:15], off
	s_load_dwordx2 s[4:5], s[4:5], 0x0
	v_max_f32_e32 v1, v7, v7
	s_waitcnt lgkmcnt(0)
	v_max_f32_e64 v13, s4, s4
	v_max_f32_e32 v1, v1, v13
	v_sub_f32_e32 v13, v7, v1
	v_sub_f32_e32 v15, s4, v1
	v_mul_f32_e32 v16, 0x3fb8aa3b, v13
	v_mul_f32_e32 v17, 0x3fb8aa3b, v15
	v_fma_f32 v18, v13, s6, -v16
	v_rndne_f32_e32 v19, v16
	v_fma_f32 v20, v15, s6, -v17
	v_rndne_f32_e32 v21, v17
	v_fmac_f32_e32 v18, 0x32a5705f, v13
	v_sub_f32_e32 v16, v16, v19
	v_fmac_f32_e32 v20, 0x32a5705f, v15
	v_sub_f32_e32 v17, v17, v21
	v_add_f32_e32 v16, v16, v18
	v_cvt_i32_f32_e32 v19, v19
	v_add_f32_e32 v17, v17, v20
	v_exp_f32_e32 v16, v16
	v_cvt_i32_f32_e32 v21, v21
	v_exp_f32_e32 v17, v17
	v_cmp_ngt_f32_e32 vcc, s7, v13
	v_ldexp_f32 v16, v16, v19
	v_cndmask_b32_e32 v16, 0, v16, vcc
	v_ldexp_f32 v17, v17, v21
	v_cmp_ngt_f32_e32 vcc, s7, v15
	v_cndmask_b32_e32 v17, 0, v17, vcc
	v_cmp_nlt_f32_e32 vcc, s12, v13
	v_cndmask_b32_e32 v16, v12, v16, vcc
	v_cmp_nlt_f32_e32 vcc, s12, v15
	v_cndmask_b32_e32 v17, v12, v17, vcc
	v_cmp_le_f32_e32 vcc, s13, v13
	v_cndmask_b32_e32 v16, 0, v16, vcc
	v_cmp_le_f32_e32 vcc, s13, v15
	v_cndmask_b32_e32 v15, 0, v17, vcc
	v_mul_f32_e32 v13, s5, v15
	v_fmac_f32_e32 v13, v6, v16
	s_waitcnt vmcnt(0)
	v_mul_f32_e32 v14, v14, v15
	v_fmac_f32_e32 v14, v5, v16
	s_cbranch_execnz .LBB12_19
.LBB12_18:
	s_add_i32 s11, s8, -1
	s_mov_b64 s[0:1], 0
	v_mov_b32_e32 v0, v8
	v_mov_b32_e32 v13, v6
	;; [unrolled: 1-line block ×3, first 2 shown]
	s_waitcnt vmcnt(0)
	v_mov_b32_e32 v14, v5
.LBB12_19:
	s_andn2_b64 vcc, exec, s[0:1]
	s_cbranch_vccz .LBB12_23
; %bb.20:
	v_mov_b32_e32 v8, v0
	s_mov_b32 s8, s11
	v_mov_b32_e32 v6, v13
	v_mov_b32_e32 v7, v1
	s_waitcnt vmcnt(0)
	v_mov_b32_e32 v5, v14
	s_mul_hi_i32 s11, s8, s15
	s_cmp_lg_u64 s[10:11], 0
	s_mul_i32 s4, s8, s15
	s_cbranch_scc1 .LBB12_9
	s_branch .LBB12_15
.LBB12_21:
                                        ; implicit-def: $sgpr20_sgpr21
	s_load_dwordx4 s[16:19], s[4:5], 0x44
	s_branch .LBB12_2
.LBB12_22:
                                        ; implicit-def: $vgpr2_vgpr3
	s_branch .LBB12_5
.LBB12_23:
	v_div_scale_f32 v0, s[0:1], v13, v13, v14
	v_rcp_f32_e32 v1, v0
	v_div_scale_f32 v4, vcc, v14, v13, v14
	s_waitcnt vmcnt(0)
	v_fma_f32 v5, -v0, v1, 1.0
	v_fmac_f32_e32 v1, v5, v1
	v_mul_f32_e32 v5, v4, v1
	v_fma_f32 v6, -v0, v5, v4
	v_fmac_f32_e32 v5, v6, v1
	v_fma_f32 v0, -v0, v5, v4
	v_div_fmas_f32 v0, v0, v1, v5
	v_div_fixup_f32 v0, v0, v13, v14
	global_store_dword v[2:3], v0, off
.LBB12_24:
	s_endpgm
	.section	.rodata,"a",@progbits
	.p2align	6, 0x0
	.amdhsa_kernel _ZL33flash_attn_stream_k_fixup_generalILi128ELi4ELi8EEvPfPK15HIP_vector_typeIfLj2EEiiiiS1_IjLj3EES5_S5_S5_
		.amdhsa_group_segment_fixed_size 0
		.amdhsa_private_segment_fixed_size 0
		.amdhsa_kernarg_size 336
		.amdhsa_user_sgpr_count 6
		.amdhsa_user_sgpr_private_segment_buffer 1
		.amdhsa_user_sgpr_dispatch_ptr 0
		.amdhsa_user_sgpr_queue_ptr 0
		.amdhsa_user_sgpr_kernarg_segment_ptr 1
		.amdhsa_user_sgpr_dispatch_id 0
		.amdhsa_user_sgpr_flat_scratch_init 0
		.amdhsa_user_sgpr_kernarg_preload_length 0
		.amdhsa_user_sgpr_kernarg_preload_offset 0
		.amdhsa_user_sgpr_private_segment_size 0
		.amdhsa_uses_dynamic_stack 0
		.amdhsa_system_sgpr_private_segment_wavefront_offset 0
		.amdhsa_system_sgpr_workgroup_id_x 1
		.amdhsa_system_sgpr_workgroup_id_y 1
		.amdhsa_system_sgpr_workgroup_id_z 1
		.amdhsa_system_sgpr_workgroup_info 0
		.amdhsa_system_vgpr_workitem_id 0
		.amdhsa_next_free_vgpr 22
		.amdhsa_next_free_sgpr 32
		.amdhsa_accum_offset 24
		.amdhsa_reserve_vcc 1
		.amdhsa_reserve_flat_scratch 0
		.amdhsa_float_round_mode_32 0
		.amdhsa_float_round_mode_16_64 0
		.amdhsa_float_denorm_mode_32 3
		.amdhsa_float_denorm_mode_16_64 3
		.amdhsa_dx10_clamp 1
		.amdhsa_ieee_mode 1
		.amdhsa_fp16_overflow 0
		.amdhsa_tg_split 0
		.amdhsa_exception_fp_ieee_invalid_op 0
		.amdhsa_exception_fp_denorm_src 0
		.amdhsa_exception_fp_ieee_div_zero 0
		.amdhsa_exception_fp_ieee_overflow 0
		.amdhsa_exception_fp_ieee_underflow 0
		.amdhsa_exception_fp_ieee_inexact 0
		.amdhsa_exception_int_div_zero 0
	.end_amdhsa_kernel
	.section	.text._ZL33flash_attn_stream_k_fixup_generalILi128ELi4ELi8EEvPfPK15HIP_vector_typeIfLj2EEiiiiS1_IjLj3EES5_S5_S5_,"axG",@progbits,_ZL33flash_attn_stream_k_fixup_generalILi128ELi4ELi8EEvPfPK15HIP_vector_typeIfLj2EEiiiiS1_IjLj3EES5_S5_S5_,comdat
.Lfunc_end12:
	.size	_ZL33flash_attn_stream_k_fixup_generalILi128ELi4ELi8EEvPfPK15HIP_vector_typeIfLj2EEiiiiS1_IjLj3EES5_S5_S5_, .Lfunc_end12-_ZL33flash_attn_stream_k_fixup_generalILi128ELi4ELi8EEvPfPK15HIP_vector_typeIfLj2EEiiiiS1_IjLj3EES5_S5_S5_
                                        ; -- End function
	.section	.AMDGPU.csdata,"",@progbits
; Kernel info:
; codeLenInByte = 2824
; NumSgprs: 36
; NumVgprs: 22
; NumAgprs: 0
; TotalNumVgprs: 22
; ScratchSize: 0
; MemoryBound: 0
; FloatMode: 240
; IeeeMode: 1
; LDSByteSize: 0 bytes/workgroup (compile time only)
; SGPRBlocks: 4
; VGPRBlocks: 2
; NumSGPRsForWavesPerEU: 36
; NumVGPRsForWavesPerEU: 22
; AccumOffset: 24
; Occupancy: 8
; WaveLimiterHint : 0
; COMPUTE_PGM_RSRC2:SCRATCH_EN: 0
; COMPUTE_PGM_RSRC2:USER_SGPR: 6
; COMPUTE_PGM_RSRC2:TRAP_HANDLER: 0
; COMPUTE_PGM_RSRC2:TGID_X_EN: 1
; COMPUTE_PGM_RSRC2:TGID_Y_EN: 1
; COMPUTE_PGM_RSRC2:TGID_Z_EN: 1
; COMPUTE_PGM_RSRC2:TIDIG_COMP_CNT: 0
; COMPUTE_PGM_RSRC3_GFX90A:ACCUM_OFFSET: 5
; COMPUTE_PGM_RSRC3_GFX90A:TG_SPLIT: 0
	.section	.text._ZL15flash_attn_tileILi192ELi128ELi2ELi8ELb0EEvPKcS1_S1_S1_S1_PKiPfP15HIP_vector_typeIfLj2EEffffjfiS5_IjLj3EEiiiiiiiiiiiliiliiiiil,"axG",@progbits,_ZL15flash_attn_tileILi192ELi128ELi2ELi8ELb0EEvPKcS1_S1_S1_S1_PKiPfP15HIP_vector_typeIfLj2EEffffjfiS5_IjLj3EEiiiiiiiiiiiliiliiiiil,comdat
	.globl	_ZL15flash_attn_tileILi192ELi128ELi2ELi8ELb0EEvPKcS1_S1_S1_S1_PKiPfP15HIP_vector_typeIfLj2EEffffjfiS5_IjLj3EEiiiiiiiiiiiliiliiiiil ; -- Begin function _ZL15flash_attn_tileILi192ELi128ELi2ELi8ELb0EEvPKcS1_S1_S1_S1_PKiPfP15HIP_vector_typeIfLj2EEffffjfiS5_IjLj3EEiiiiiiiiiiiliiliiiiil
	.p2align	8
	.type	_ZL15flash_attn_tileILi192ELi128ELi2ELi8ELb0EEvPKcS1_S1_S1_S1_PKiPfP15HIP_vector_typeIfLj2EEffffjfiS5_IjLj3EEiiiiiiiiiiiliiliiiiil,@function
_ZL15flash_attn_tileILi192ELi128ELi2ELi8ELb0EEvPKcS1_S1_S1_S1_PKiPfP15HIP_vector_typeIfLj2EEffffjfiS5_IjLj3EEiiiiiiiiiiiliiliiiiil: ; @_ZL15flash_attn_tileILi192ELi128ELi2ELi8ELb0EEvPKcS1_S1_S1_S1_PKiPfP15HIP_vector_typeIfLj2EEffffjfiS5_IjLj3EEiiiiiiiiiiiliiliiiiil
; %bb.0:
	s_load_dwordx4 s[28:31], s[4:5], 0x5c
	s_load_dwordx2 s[34:35], s[4:5], 0x80
	s_load_dwordx16 s[12:27], s[4:5], 0x0
	s_mov_b64 s[36:37], 0
	s_waitcnt lgkmcnt(0)
	s_ashr_i32 s0, s31, 31
	s_lshr_b32 s0, s0, 29
	s_add_i32 s0, s31, s0
	s_ashr_i32 s0, s0, 3
	v_cvt_f32_u32_e32 v1, s0
	s_sub_i32 s1, 0, s0
	v_rcp_iflag_f32_e32 v1, v1
	v_mul_f32_e32 v1, 0x4f7ffffe, v1
	v_cvt_u32_f32_e32 v1, v1
	v_readfirstlane_b32 s2, v1
	s_mul_i32 s1, s1, s2
	s_mul_hi_u32 s1, s2, s1
	s_add_i32 s2, s2, s1
	s_mul_hi_u32 s1, s8, s2
	s_mul_i32 s2, s1, s0
	s_sub_i32 s2, s8, s2
	s_add_i32 s3, s1, 1
	s_sub_i32 s9, s2, s0
	s_cmp_ge_u32 s2, s0
	s_cselect_b32 s1, s3, s1
	s_cselect_b32 s2, s9, s2
	s_add_i32 s3, s1, 1
	s_cmp_ge_u32 s2, s0
	s_cselect_b32 s33, s3, s1
	s_abs_i32 s0, s35
	v_cvt_f32_u32_e32 v1, s0
	s_lshl_b32 s1, s8, 3
	s_mul_i32 s8, s33, s31
	s_xor_b32 s2, s31, s35
	v_rcp_iflag_f32_e32 v1, v1
	s_sub_i32 s9, 0, s0
	s_sub_i32 s35, s1, s8
	s_abs_i32 s3, s31
	v_mul_f32_e32 v1, 0x4f7ffffe, v1
	v_cvt_u32_f32_e32 v1, v1
	s_ashr_i32 s2, s2, 31
	v_readfirstlane_b32 s1, v1
	s_mul_i32 s9, s9, s1
	s_mul_hi_u32 s8, s1, s9
	s_add_i32 s1, s1, s8
	s_mul_hi_u32 s1, s3, s1
	s_mul_i32 s8, s1, s0
	s_sub_i32 s3, s3, s8
	s_add_i32 s9, s1, 1
	s_sub_i32 s8, s3, s0
	s_cmp_ge_u32 s3, s0
	s_cselect_b32 s1, s9, s1
	s_cselect_b32 s3, s8, s3
	s_add_i32 s8, s1, 1
	s_cmp_ge_u32 s3, s0
	s_cselect_b32 s0, s8, s1
	s_xor_b32 s0, s0, s2
	s_sub_i32 s39, s0, s2
	s_abs_i32 s38, s39
	v_cvt_f32_u32_e32 v1, s38
	s_load_dwordx2 s[8:9], s[4:5], 0xb8
	s_cmp_eq_u64 s[18:19], 0
	v_rcp_iflag_f32_e32 v1, v1
	v_mul_f32_e32 v1, 0x4f7ffffe, v1
	v_cvt_u32_f32_e32 v1, v1
	v_readfirstlane_b32 s40, v1
	s_cbranch_scc1 .LBB13_2
; %bb.1:
	s_waitcnt lgkmcnt(0)
	s_abs_i32 s2, s8
	v_cvt_f32_u32_e32 v1, s2
	s_sub_i32 s10, 0, s2
	s_abs_i32 s8, s33
	s_ashr_i32 s3, s33, 31
	v_rcp_iflag_f32_e32 v1, v1
	s_load_dwordx2 s[0:1], s[4:5], 0xc8
	v_mul_f32_e32 v1, 0x4f7ffffe, v1
	v_cvt_u32_f32_e32 v1, v1
	v_readfirstlane_b32 s11, v1
	s_mul_i32 s10, s10, s11
	s_mul_hi_u32 s10, s11, s10
	s_add_i32 s11, s11, s10
	s_mul_hi_u32 s10, s8, s11
	s_mul_i32 s10, s10, s2
	s_sub_i32 s8, s8, s10
	s_sub_i32 s10, s8, s2
	s_cmp_ge_u32 s8, s2
	s_cselect_b32 s8, s10, s8
	s_sub_i32 s10, s8, s2
	s_cmp_ge_u32 s8, s2
	s_cselect_b32 s2, s10, s8
	s_xor_b32 s2, s2, s3
	s_sub_i32 s2, s2, s3
	s_ashr_i32 s3, s2, 31
	s_waitcnt lgkmcnt(0)
	s_mul_i32 s1, s2, s1
	s_mul_hi_u32 s8, s2, s0
	s_add_i32 s1, s8, s1
	s_mul_i32 s3, s3, s0
	s_add_i32 s1, s1, s3
	s_mul_i32 s2, s2, s0
	s_add_u32 s36, s18, s2
	s_addc_u32 s37, s19, s1
.LBB13_2:
	s_load_dwordx4 s[0:3], s[4:5], 0x70
	v_bfe_u32 v9, v0, 10, 10
	v_lshrrev_b32_e32 v1, 2, v9
	v_lshl_add_u32 v1, s6, 1, v1
	v_mul_hi_u32 v2, s28, v1
	s_waitcnt lgkmcnt(0)
	s_mul_i32 s2, s33, s2
	s_ashr_i32 s8, s2, 31
	s_mul_i32 s3, s35, s1
	s_add_u32 s2, s12, s2
	v_add_u32_e32 v2, v1, v2
	s_addc_u32 s8, s13, s8
	s_ashr_i32 s10, s3, 31
	v_lshrrev_b32_e32 v2, s29, v2
	s_add_u32 s12, s2, s3
	v_mul_lo_u32 v2, v2, s30
	s_addc_u32 s8, s8, s10
	v_sub_u32_e32 v6, v1, v2
	s_ashr_i32 s10, s0, 31
	v_mov_b32_e32 v2, s0
	v_alignbit_b32 v2, s10, v2, 2
	v_mad_u64_u32 v[2:3], s[2:3], v2, v6, 0
	v_mov_b32_e32 v4, v3
	s_lshr_b32 s0, s10, 2
	v_mad_u64_u32 v[4:5], s[2:3], s0, v6, v[4:5]
	v_mov_b32_e32 v3, v4
	v_lshlrev_b64 v[2:3], 2, v[2:3]
	v_and_b32_e32 v0, 0x3ff, v0
	v_mov_b32_e32 v4, s8
	v_add_co_u32_e32 v2, vcc, s12, v2
	v_addc_co_u32_e32 v3, vcc, v4, v3, vcc
	v_lshlrev_b32_e32 v4, 4, v0
	v_lshlrev_b32_e32 v8, 1, v9
	s_ashr_i32 s11, s1, 31
	v_add_co_u32_e32 v4, vcc, v2, v4
	v_mov_b32_e32 v2, s1
	v_and_b32_e32 v18, 6, v8
	v_alignbit_b32 v2, s11, v2, 2
	v_addc_co_u32_e32 v5, vcc, 0, v3, vcc
	v_mad_u64_u32 v[2:3], s[2:3], v2, v18, 0
	v_mov_b32_e32 v10, v3
	s_lshr_b32 s0, s11, 2
	v_mad_u64_u32 v[10:11], s[2:3], s0, v18, v[10:11]
	v_mov_b32_e32 v3, v10
	v_lshlrev_b64 v[2:3], 2, v[2:3]
	v_add_co_u32_e32 v2, vcc, v4, v2
	v_addc_co_u32_e32 v3, vcc, v5, v3, vcc
	global_load_dwordx4 v[14:17], v[2:3], off
	s_load_dword s2, s[4:5], 0x40
	v_lshlrev_b32_e32 v12, 1, v0
	v_mul_u32_u24_e32 v7, 0xc0, v9
	s_mov_b32 s10, s1
	v_add_lshl_u32 v7, v7, v12, 2
	s_waitcnt lgkmcnt(0)
	s_mov_b32 s3, s2
	s_lshr_b64 s[0:1], s[10:11], 2
	v_cmp_gt_u32_e32 vcc, 16, v0
	s_waitcnt vmcnt(0)
	v_pk_mul_f32 v[10:11], v[14:15], s[2:3] op_sel_hi:[1,0]
	v_pk_mul_f32 v[14:15], v[16:17], s[2:3] op_sel_hi:[1,0]
	v_cvt_f16_f32_e32 v13, v11
	v_cvt_f16_f32_e32 v11, v15
	;; [unrolled: 1-line block ×4, first 2 shown]
	v_pack_b32_f16 v11, v14, v11
	v_pack_b32_f16 v10, v10, v13
	ds_write_b64 v7, v[10:11]
	s_and_saveexec_b64 s[10:11], vcc
	s_cbranch_execz .LBB13_4
; %bb.3:
	global_load_dwordx4 v[14:17], v[2:3], off offset:512
	s_waitcnt vmcnt(0)
	v_pk_mul_f32 v[2:3], v[14:15], s[2:3]
	v_pk_mul_f32 v[10:11], v[16:17], s[2:3]
	v_cvt_f16_f32_e32 v3, v3
	v_cvt_f16_f32_e32 v2, v2
	;; [unrolled: 1-line block ×4, first 2 shown]
	v_pack_b32_f16 v2, v2, v3
	v_pack_b32_f16 v3, v10, v11
	ds_write_b64 v7, v[2:3] offset:256
.LBB13_4:
	s_or_b64 exec, exec, s[10:11]
	v_or_b32_e32 v7, 1, v8
	v_and_b32_e32 v11, 7, v7
	v_mad_u64_u32 v[2:3], s[10:11], s0, v11, 0
	v_mov_b32_e32 v10, v3
	v_mad_u64_u32 v[10:11], s[0:1], s1, v11, v[10:11]
	v_mov_b32_e32 v3, v10
	v_lshlrev_b64 v[2:3], 2, v[2:3]
	v_add_co_u32_e64 v2, s[0:1], v4, v2
	v_addc_co_u32_e64 v3, s[0:1], v5, v3, s[0:1]
	global_load_dwordx4 v[14:17], v[2:3], off
	s_waitcnt vmcnt(0)
	v_pk_mul_f32 v[4:5], v[14:15], s[2:3]
	v_pk_mul_f32 v[10:11], v[16:17], s[2:3]
	v_cvt_f16_f32_e32 v5, v5
	v_cvt_f16_f32_e32 v11, v11
	;; [unrolled: 1-line block ×4, first 2 shown]
	v_mul_u32_u24_e32 v4, 0x60, v7
	v_add_lshl_u32 v4, v4, v12, 2
	v_pack_b32_f16 v11, v10, v11
	v_pack_b32_f16 v10, v13, v5
	ds_write_b64 v4, v[10:11]
	s_and_saveexec_b64 s[0:1], vcc
	s_cbranch_execz .LBB13_6
; %bb.5:
	global_load_dwordx4 v[14:17], v[2:3], off offset:512
	s_waitcnt vmcnt(0)
	v_pk_mul_f32 v[2:3], v[14:15], s[2:3]
	v_pk_mul_f32 v[10:11], v[16:17], s[2:3]
	v_cvt_f16_f32_e32 v3, v3
	v_cvt_f16_f32_e32 v2, v2
	;; [unrolled: 1-line block ×4, first 2 shown]
	v_pack_b32_f16 v2, v2, v3
	v_pack_b32_f16 v3, v7, v5
	ds_write_b64 v4, v[2:3] offset:256
.LBB13_6:
	s_or_b64 exec, exec, s[0:1]
	s_cmp_eq_u64 s[22:23], 0
	s_waitcnt lgkmcnt(0)
	s_barrier
	s_cbranch_scc1 .LBB13_8
; %bb.7:
	s_load_dword s0, s[4:5], 0xd0
	s_mov_b32 s1, 0
	s_waitcnt lgkmcnt(0)
	s_mul_i32 s0, s0, s33
	s_add_i32 s0, s0, s6
	s_lshl_b64 s[0:1], s[0:1], 2
	s_add_u32 s0, s22, s0
	s_addc_u32 s1, s23, s1
	s_load_dword s34, s[0:1], 0x0
.LBB13_8:
	s_lshl_b32 s22, s7, 5
	s_waitcnt lgkmcnt(0)
	s_cmp_lt_i32 s22, s34
	v_mbcnt_lo_u32_b32 v13, -1, 0
	s_cbranch_scc1 .LBB13_10
; %bb.9:
	v_mbcnt_hi_u32_b32 v21, -1, v13
	v_and_b32_e32 v2, 0x60, v21
	s_mov_b32 s0, 0xfeffffff
	s_mov_b32 s6, 0
	v_add_u32_e32 v22, 32, v2
	v_xor_b32_e32 v27, 16, v21
	v_xor_b32_e32 v26, 8, v21
	;; [unrolled: 1-line block ×5, first 2 shown]
	s_mov_b32 s1, s0
	s_mov_b64 s[2:3], 0
	s_branch .LBB13_11
.LBB13_10:
	s_mov_b64 s[2:3], -1
                                        ; implicit-def: $sgpr6
                                        ; implicit-def: $sgpr0_sgpr1
                                        ; implicit-def: $vgpr21
                                        ; implicit-def: $vgpr22
                                        ; implicit-def: $vgpr27
                                        ; implicit-def: $vgpr26
                                        ; implicit-def: $vgpr25
                                        ; implicit-def: $vgpr24
                                        ; implicit-def: $vgpr23
.LBB13_11:
	v_lshlrev_b32_e32 v3, 2, v0
	s_andn2_b64 vcc, exec, s[2:3]
	v_mov_b32_e32 v5, s6
	v_mov_b32_e32 v7, s6
	v_pk_mov_b32 v[10:11], s[0:1], s[0:1] op_sel:[0,1]
	v_mov_b32_e32 v20, s6
	v_mov_b32_e32 v4, s6
	;; [unrolled: 1-line block ×4, first 2 shown]
	s_cbranch_vccnz .LBB13_14
; %bb.12:
	s_sub_i32 s0, 0, s38
	s_mul_i32 s0, s0, s40
	s_mul_hi_u32 s0, s40, s0
	s_add_i32 s40, s40, s0
	s_load_dwordx2 s[10:11], s[4:5], 0x8c
	s_load_dwordx4 s[0:3], s[4:5], 0x98
	s_abs_i32 s6, s35
	s_mul_hi_u32 s8, s6, s40
	s_ashr_i32 s18, s35, 31
	s_waitcnt lgkmcnt(0)
	s_ashr_i32 s28, s10, 2
	s_ashr_i32 s23, s2, 2
	;; [unrolled: 1-line block ×4, first 2 shown]
	s_mul_i32 s1, s33, s1
	s_mul_hi_u32 s10, s33, s0
	s_add_i32 s1, s10, s1
	s_mul_i32 s10, s9, s0
	s_ashr_i32 s19, s39, 31
	s_add_i32 s1, s1, s10
	s_mul_i32 s0, s33, s0
	s_add_u32 s0, s14, s0
	s_mul_i32 s14, s8, s38
	s_addc_u32 s1, s15, s1
	s_sub_i32 s6, s6, s14
	s_xor_b32 s10, s18, s19
	s_add_i32 s14, s8, 1
	s_sub_i32 s15, s6, s38
	s_cmp_ge_u32 s6, s38
	s_cselect_b32 s8, s14, s8
	s_cselect_b32 s6, s15, s6
	s_add_i32 s14, s8, 1
	s_cmp_ge_u32 s6, s38
	s_cselect_b32 s6, s14, s8
	s_load_dwordx2 s[12:13], s[4:5], 0xa8
	s_xor_b32 s6, s6, s10
	s_sub_i32 s6, s6, s10
	s_mul_i32 s8, s6, s11
	s_ashr_i32 s10, s8, 31
	s_add_u32 s0, s0, s8
	s_addc_u32 s1, s1, s10
	s_waitcnt lgkmcnt(0)
	s_mul_i32 s8, s33, s13
	s_mul_hi_u32 s10, s33, s12
	s_add_i32 s8, s10, s8
	s_mul_i32 s9, s9, s12
	s_add_i32 s8, s8, s9
	s_mul_i32 s9, s33, s12
	s_add_u32 s9, s16, s9
	s_mul_i32 s6, s6, s3
	v_lshrrev_b32_e32 v2, 3, v0
	s_addc_u32 s8, s17, s8
	s_ashr_i32 s3, s6, 31
	v_lshl_add_u32 v2, v9, 2, v2
	v_and_b32_e32 v4, 28, v3
	s_add_u32 s6, s9, s6
	v_mul_u32_u24_e32 v5, 0x90, v2
	v_lshlrev_b32_e32 v7, 2, v4
	s_movk_i32 s9, 0x1800
	v_mul_lo_u32 v4, s28, v2
	v_add3_u32 v28, v5, v7, s9
	v_ashrrev_i32_e32 v5, 31, v4
	v_lshlrev_b64 v[4:5], 2, v[4:5]
	v_mov_b32_e32 v2, s1
	v_add_co_u32_e32 v4, vcc, s0, v4
	v_addc_co_u32_e32 v2, vcc, v2, v5, vcc
	v_add_co_u32_e32 v29, vcc, v4, v7
	v_mov_b32_e32 v4, 0x2a00
	v_mad_u64_u32 v[6:7], s[0:1], v6, s2, v[0:1]
	v_lshl_add_u32 v33, v9, 7, v4
	v_lshrrev_b32_e32 v4, 4, v0
	v_and_b32_e32 v5, 60, v3
	v_add_u32_e32 v4, v8, v4
	v_lshlrev_b32_e32 v7, 2, v5
	v_lshl_or_b32 v5, v4, 8, v7
	v_mul_lo_u32 v4, s23, v4
	v_add_u32_e32 v35, 0x1800, v5
	v_ashrrev_i32_e32 v5, 31, v4
	s_addc_u32 s3, s8, s3
	v_addc_co_u32_e32 v30, vcc, 0, v2, vcc
	v_lshlrev_b64 v[4:5], 2, v[4:5]
	v_mov_b32_e32 v8, s3
	v_add_co_u32_e32 v4, vcc, s6, v4
	v_addc_co_u32_e32 v5, vcc, v8, v5, vcc
	v_mov_b32_e32 v2, 0x1800
	v_add_co_u32_e32 v36, vcc, v4, v7
	v_mbcnt_hi_u32_b32 v21, -1, v13
	s_movk_i32 s8, 0x90
	v_addc_co_u32_e32 v37, vcc, 0, v5, vcc
	v_lshl_add_u32 v38, v12, 2, v2
	s_add_u32 s18, s4, 0xd0
	v_mov_b32_e32 v8, 0xfeffffff
	v_mov_b32_e32 v4, 0
	v_and_b32_e32 v5, 0x60, v21
	v_mad_u32_u24 v31, v0, s8, v2
	v_mul_u32_u24_e32 v32, 0x300, v9
	v_lshl_add_u32 v34, v12, 1, v33
	s_addc_u32 s19, s5, 0
	v_mov_b32_e32 v19, 0
	v_mov_b32_e32 v2, 0
	;; [unrolled: 1-line block ×3, first 2 shown]
	v_add_u32_e32 v22, 32, v5
	v_xor_b32_e32 v27, 16, v21
	v_xor_b32_e32 v26, 8, v21
	v_xor_b32_e32 v25, 4, v21
	v_xor_b32_e32 v24, 2, v21
	v_xor_b32_e32 v23, 1, v21
	s_mov_b32 s6, 0x40051340
	s_mov_b32 s29, 0x3fb8aa3b
	;; [unrolled: 1-line block ×4, first 2 shown]
	v_mov_b32_e32 v40, 0x7f800000
	v_add_u32_e32 v41, 0x800, v38
	v_mov_b32_e32 v20, 0
	v_mov_b32_e32 v7, 0
	;; [unrolled: 1-line block ×4, first 2 shown]
.LBB13_13:                              ; =>This Inner Loop Header: Depth=1
	s_mul_hi_i32 s13, s22, s28
	s_mul_i32 s12, s22, s28
	v_cmp_lt_i32_e64 s[0:1], v26, v22
	v_cndmask_b32_e64 v15, v21, v26, s[0:1]
	s_lshl_b64 s[0:1], s[12:13], 2
	v_cmp_lt_i32_e64 s[8:9], v23, v22
	v_lshlrev_b32_e32 v59, 2, v15
	v_mov_b32_e32 v15, s1
	v_add_co_u32_e64 v56, s[0:1], s0, v29
	v_cndmask_b32_e64 v44, v21, v23, s[8:9]
	v_addc_co_u32_e64 v57, s[0:1], v30, v15, s[0:1]
	v_lshlrev_b32_e32 v62, 2, v44
	global_load_dwordx4 v[44:47], v[56:57], off
	v_cmp_lt_i32_e32 vcc, v27, v22
	v_cmp_lt_i32_e64 s[2:3], v25, v22
	v_cmp_lt_i32_e64 s[10:11], v24, v22
	s_mul_hi_i32 s15, s22, s23
	s_mul_i32 s14, s22, s23
	v_add_u32_e32 v12, s22, v6
	s_or_b32 s16, s22, 16
	v_cndmask_b32_e32 v14, v21, v27, vcc
	v_cndmask_b32_e64 v16, v21, v25, s[2:3]
	v_cndmask_b32_e64 v17, v21, v24, s[10:11]
	s_lshl_b64 s[2:3], s[14:15], 2
	v_ashrrev_i32_e32 v13, 31, v12
	s_mul_hi_i32 s9, s16, s23
	s_mul_i32 s8, s16, s23
	v_lshlrev_b32_e32 v58, 2, v14
	v_lshlrev_b32_e32 v61, 2, v17
	v_mov_b32_e32 v17, s3
	v_add_co_u32_e32 v14, vcc, s2, v36
	v_lshlrev_b64 v[12:13], 1, v[12:13]
	s_lshl_b64 s[2:3], s[8:9], 2
	v_addc_co_u32_e32 v15, vcc, v37, v17, vcc
	v_lshlrev_b32_e32 v60, 2, v16
	v_add_co_u32_e64 v16, s[0:1], s36, v12
	v_mov_b32_e32 v48, s3
	v_add_co_u32_e32 v12, vcc, s2, v36
	v_addc_co_u32_e64 v17, s[0:1], v39, v13, s[0:1]
	v_addc_co_u32_e32 v13, vcc, v37, v48, vcc
	v_mov_b32_e32 v10, 0
	v_mov_b32_e32 v11, 0
	v_max_f32_e32 v42, v9, v9
	v_max_f32_e32 v43, v8, v8
	s_waitcnt vmcnt(0)
	ds_write_b128 v28, v[44:47]
	s_waitcnt lgkmcnt(0)
	s_barrier
	ds_read_b128 v[44:47], v31
	ds_read_b128 v[48:51], v32
	ds_read_b128 v[52:55], v32 offset:384
	s_waitcnt lgkmcnt(1)
	;;#ASMSTART
	v_dot2_f32_f16 v10, v44, v48, v10
	;;#ASMEND
	;;#ASMSTART
	v_dot2_f32_f16 v10, v45, v49, v10
	;;#ASMEND
	;;#ASMSTART
	v_dot2_f32_f16 v10, v46, v50, v10
	;;#ASMEND
	;;#ASMSTART
	v_dot2_f32_f16 v10, v47, v51, v10
	;;#ASMEND
	s_waitcnt lgkmcnt(0)
	;;#ASMSTART
	v_dot2_f32_f16 v11, v44, v52, v11
	;;#ASMEND
	;;#ASMSTART
	v_dot2_f32_f16 v11, v45, v53, v11
	;;#ASMEND
	;;#ASMSTART
	v_dot2_f32_f16 v11, v46, v54, v11
	;;#ASMEND
	;;#ASMSTART
	v_dot2_f32_f16 v11, v47, v55, v11
	;;#ASMEND
	ds_read_b128 v[44:47], v31 offset:16
	ds_read_b128 v[48:51], v32 offset:16
	ds_read_b128 v[52:55], v32 offset:400
	s_waitcnt lgkmcnt(1)
	;;#ASMSTART
	v_dot2_f32_f16 v10, v44, v48, v10
	;;#ASMEND
	;;#ASMSTART
	v_dot2_f32_f16 v10, v45, v49, v10
	;;#ASMEND
	;;#ASMSTART
	v_dot2_f32_f16 v10, v46, v50, v10
	;;#ASMEND
	;;#ASMSTART
	v_dot2_f32_f16 v10, v47, v51, v10
	;;#ASMEND
	s_waitcnt lgkmcnt(0)
	;;#ASMSTART
	v_dot2_f32_f16 v11, v44, v52, v11
	;;#ASMEND
	;;#ASMSTART
	v_dot2_f32_f16 v11, v45, v53, v11
	;;#ASMEND
	;;#ASMSTART
	v_dot2_f32_f16 v11, v46, v54, v11
	;;#ASMEND
	;;#ASMSTART
	v_dot2_f32_f16 v11, v47, v55, v11
	;;#ASMEND
	ds_read_b128 v[44:47], v31 offset:32
	ds_read_b128 v[48:51], v32 offset:32
	;; [unrolled: 29-line block ×7, first 2 shown]
	ds_read_b128 v[52:55], v32 offset:496
	s_waitcnt lgkmcnt(1)
	;;#ASMSTART
	v_dot2_f32_f16 v10, v44, v48, v10
	;;#ASMEND
	;;#ASMSTART
	v_dot2_f32_f16 v10, v45, v49, v10
	;;#ASMEND
	;; [unrolled: 3-line block ×4, first 2 shown]
	s_waitcnt lgkmcnt(0)
	;;#ASMSTART
	v_dot2_f32_f16 v11, v44, v52, v11
	;;#ASMEND
	;;#ASMSTART
	v_dot2_f32_f16 v11, v45, v53, v11
	;;#ASMEND
	;; [unrolled: 3-line block ×4, first 2 shown]
	s_barrier
	global_load_dwordx4 v[44:47], v[56:57], off offset:128
	s_waitcnt vmcnt(0)
	ds_write_b128 v28, v[44:47]
	s_waitcnt lgkmcnt(0)
	s_barrier
	ds_read_b128 v[44:47], v31
	ds_read_b128 v[48:51], v32 offset:128
	ds_read_b128 v[52:55], v32 offset:512
	s_waitcnt lgkmcnt(1)
	;;#ASMSTART
	v_dot2_f32_f16 v10, v44, v48, v10
	;;#ASMEND
	;;#ASMSTART
	v_dot2_f32_f16 v10, v45, v49, v10
	;;#ASMEND
	;;#ASMSTART
	v_dot2_f32_f16 v10, v46, v50, v10
	;;#ASMEND
	;;#ASMSTART
	v_dot2_f32_f16 v10, v47, v51, v10
	;;#ASMEND
	s_waitcnt lgkmcnt(0)
	;;#ASMSTART
	v_dot2_f32_f16 v11, v44, v52, v11
	;;#ASMEND
	;;#ASMSTART
	v_dot2_f32_f16 v11, v45, v53, v11
	;;#ASMEND
	;;#ASMSTART
	v_dot2_f32_f16 v11, v46, v54, v11
	;;#ASMEND
	;;#ASMSTART
	v_dot2_f32_f16 v11, v47, v55, v11
	;;#ASMEND
	ds_read_b128 v[44:47], v31 offset:16
	ds_read_b128 v[48:51], v32 offset:144
	ds_read_b128 v[52:55], v32 offset:528
	s_waitcnt lgkmcnt(1)
	;;#ASMSTART
	v_dot2_f32_f16 v10, v44, v48, v10
	;;#ASMEND
	;;#ASMSTART
	v_dot2_f32_f16 v10, v45, v49, v10
	;;#ASMEND
	;;#ASMSTART
	v_dot2_f32_f16 v10, v46, v50, v10
	;;#ASMEND
	;;#ASMSTART
	v_dot2_f32_f16 v10, v47, v51, v10
	;;#ASMEND
	s_waitcnt lgkmcnt(0)
	;;#ASMSTART
	v_dot2_f32_f16 v11, v44, v52, v11
	;;#ASMEND
	;;#ASMSTART
	v_dot2_f32_f16 v11, v45, v53, v11
	;;#ASMEND
	;;#ASMSTART
	v_dot2_f32_f16 v11, v46, v54, v11
	;;#ASMEND
	;;#ASMSTART
	v_dot2_f32_f16 v11, v47, v55, v11
	;;#ASMEND
	ds_read_b128 v[44:47], v31 offset:32
	;; [unrolled: 29-line block ×7, first 2 shown]
	ds_read_b128 v[48:51], v32 offset:240
	ds_read_b128 v[52:55], v32 offset:624
	s_waitcnt lgkmcnt(1)
	;;#ASMSTART
	v_dot2_f32_f16 v10, v44, v48, v10
	;;#ASMEND
	;;#ASMSTART
	v_dot2_f32_f16 v10, v45, v49, v10
	;;#ASMEND
	;; [unrolled: 3-line block ×4, first 2 shown]
	s_waitcnt lgkmcnt(0)
	;;#ASMSTART
	v_dot2_f32_f16 v11, v44, v52, v11
	;;#ASMEND
	;;#ASMSTART
	v_dot2_f32_f16 v11, v45, v53, v11
	;;#ASMEND
	;;#ASMSTART
	v_dot2_f32_f16 v11, v46, v54, v11
	;;#ASMEND
	;;#ASMSTART
	v_dot2_f32_f16 v11, v47, v55, v11
	;;#ASMEND
	s_barrier
	global_load_dwordx4 v[44:47], v[56:57], off offset:256
	s_waitcnt vmcnt(0)
	ds_write_b128 v28, v[44:47]
	s_waitcnt lgkmcnt(0)
	s_barrier
	ds_read_b128 v[44:47], v31
	ds_read_b128 v[48:51], v32 offset:256
	ds_read_b128 v[52:55], v32 offset:640
	s_waitcnt lgkmcnt(1)
	;;#ASMSTART
	v_dot2_f32_f16 v10, v44, v48, v10
	;;#ASMEND
	;;#ASMSTART
	v_dot2_f32_f16 v10, v45, v49, v10
	;;#ASMEND
	;;#ASMSTART
	v_dot2_f32_f16 v10, v46, v50, v10
	;;#ASMEND
	;;#ASMSTART
	v_dot2_f32_f16 v10, v47, v51, v10
	;;#ASMEND
	s_waitcnt lgkmcnt(0)
	;;#ASMSTART
	v_dot2_f32_f16 v11, v44, v52, v11
	;;#ASMEND
	;;#ASMSTART
	v_dot2_f32_f16 v11, v45, v53, v11
	;;#ASMEND
	;;#ASMSTART
	v_dot2_f32_f16 v11, v46, v54, v11
	;;#ASMEND
	;;#ASMSTART
	v_dot2_f32_f16 v11, v47, v55, v11
	;;#ASMEND
	ds_read_b128 v[44:47], v31 offset:16
	ds_read_b128 v[48:51], v32 offset:272
	ds_read_b128 v[52:55], v32 offset:656
	s_waitcnt lgkmcnt(1)
	;;#ASMSTART
	v_dot2_f32_f16 v10, v44, v48, v10
	;;#ASMEND
	;;#ASMSTART
	v_dot2_f32_f16 v10, v45, v49, v10
	;;#ASMEND
	;;#ASMSTART
	v_dot2_f32_f16 v10, v46, v50, v10
	;;#ASMEND
	;;#ASMSTART
	v_dot2_f32_f16 v10, v47, v51, v10
	;;#ASMEND
	s_waitcnt lgkmcnt(0)
	;;#ASMSTART
	v_dot2_f32_f16 v11, v44, v52, v11
	;;#ASMEND
	;;#ASMSTART
	v_dot2_f32_f16 v11, v45, v53, v11
	;;#ASMEND
	;;#ASMSTART
	v_dot2_f32_f16 v11, v46, v54, v11
	;;#ASMEND
	;;#ASMSTART
	v_dot2_f32_f16 v11, v47, v55, v11
	;;#ASMEND
	ds_read_b128 v[44:47], v31 offset:32
	;; [unrolled: 29-line block ×7, first 2 shown]
	ds_read_b128 v[48:51], v32 offset:368
	ds_read_b128 v[52:55], v32 offset:752
	s_waitcnt lgkmcnt(1)
	;;#ASMSTART
	v_dot2_f32_f16 v10, v44, v48, v10
	;;#ASMEND
	;;#ASMSTART
	v_dot2_f32_f16 v10, v45, v49, v10
	;;#ASMEND
	;; [unrolled: 3-line block ×4, first 2 shown]
	s_waitcnt lgkmcnt(0)
	;;#ASMSTART
	v_dot2_f32_f16 v11, v44, v52, v11
	;;#ASMEND
	;;#ASMSTART
	v_dot2_f32_f16 v11, v45, v53, v11
	;;#ASMEND
	;; [unrolled: 3-line block ×4, first 2 shown]
	flat_load_ushort v44, v[16:17]
	s_waitcnt lgkmcnt(0)
	s_barrier
	global_load_dwordx4 v[14:17], v[14:15], off
	s_waitcnt vmcnt(0)
	v_cvt_f32_f16_e32 v44, v44
	v_pk_add_f32 v[44:45], v[10:11], v[44:45] op_sel_hi:[1,0]
	v_pk_add_f32 v[10:11], v[44:45], s[6:7] op_sel_hi:[1,0]
	v_max_f32_e32 v11, v42, v11
	v_max_f32_e32 v10, v43, v10
	ds_bpermute_b32 v42, v58, v11
	ds_bpermute_b32 v43, v58, v10
	s_waitcnt lgkmcnt(1)
	v_max_f32_e32 v42, v42, v42
	s_waitcnt lgkmcnt(0)
	v_max_f32_e32 v43, v43, v43
	v_max_f32_e32 v11, v11, v42
	v_max_f32_e32 v10, v10, v43
	ds_bpermute_b32 v42, v59, v11
	ds_bpermute_b32 v43, v59, v10
	s_waitcnt lgkmcnt(1)
	v_max_f32_e32 v42, v42, v42
	s_waitcnt lgkmcnt(0)
	v_max_f32_e32 v43, v43, v43
	;; [unrolled: 8-line block ×5, first 2 shown]
	v_max_f32_e32 v11, v11, v42
	v_max_f32_e32 v10, v10, v43
	v_pk_add_f32 v[42:43], v[44:45], v[10:11] neg_lo:[0,1] neg_hi:[0,1]
	v_mul_f32_e32 v46, 0x3fb8aa3b, v43
	v_mul_f32_e32 v47, 0x3fb8aa3b, v42
	v_fma_f32 v50, v43, s29, -v46
	v_rndne_f32_e32 v51, v46
	v_fma_f32 v52, v42, s29, -v47
	v_rndne_f32_e32 v53, v47
	v_pk_add_f32 v[44:45], v[8:9], v[10:11] neg_lo:[0,1] neg_hi:[0,1]
	v_cmp_ngt_f32_e32 vcc, s37, v42
	v_cmp_ngt_f32_e64 s[8:9], s37, v43
	v_cmp_nlt_f32_e64 s[10:11], s38, v42
	v_cmp_nlt_f32_e64 s[16:17], s38, v43
	v_fmac_f32_e32 v50, 0x32a5705f, v43
	v_sub_f32_e32 v43, v46, v51
	v_fmac_f32_e32 v52, 0x32a5705f, v42
	v_sub_f32_e32 v42, v47, v53
	v_mul_f32_e32 v48, 0x3fb8aa3b, v45
	v_mul_f32_e32 v49, 0x3fb8aa3b, v44
	v_add_f32_e32 v43, v43, v50
	v_add_f32_e32 v42, v42, v52
	v_fma_f32 v54, v45, s29, -v48
	v_rndne_f32_e32 v55, v48
	v_fma_f32 v56, v44, s29, -v49
	v_rndne_f32_e32 v57, v49
	v_cvt_i32_f32_e32 v46, v51
	v_cvt_i32_f32_e32 v47, v53
	v_exp_f32_e32 v43, v43
	v_exp_f32_e32 v42, v42
	v_cmp_ngt_f32_e64 s[0:1], s37, v45
	v_cmp_ngt_f32_e64 s[2:3], s37, v44
	v_cmp_nlt_f32_e64 s[12:13], s38, v45
	v_cmp_nlt_f32_e64 s[14:15], s38, v44
	v_fmac_f32_e32 v54, 0x32a5705f, v45
	v_sub_f32_e32 v45, v48, v55
	v_fmac_f32_e32 v56, 0x32a5705f, v44
	v_sub_f32_e32 v44, v49, v57
	v_add_f32_e32 v45, v45, v54
	v_add_f32_e32 v44, v44, v56
	v_cvt_i32_f32_e32 v48, v55
	v_cvt_i32_f32_e32 v49, v57
	v_exp_f32_e32 v45, v45
	v_exp_f32_e32 v44, v44
	v_ldexp_f32 v43, v43, v46
	v_ldexp_f32 v42, v42, v47
	v_cndmask_b32_e64 v43, 0, v43, s[8:9]
	v_cndmask_b32_e32 v42, 0, v42, vcc
	v_cndmask_b32_e64 v43, v40, v43, s[16:17]
	v_cndmask_b32_e64 v42, v40, v42, s[10:11]
	v_ldexp_f32 v45, v45, v48
	v_ldexp_f32 v44, v44, v49
	v_cvt_f16_f32_e32 v46, v43
	v_cvt_f16_f32_e32 v47, v42
	v_cndmask_b32_e64 v45, 0, v45, s[0:1]
	v_cndmask_b32_e64 v44, 0, v44, s[2:3]
	;; [unrolled: 1-line block ×4, first 2 shown]
	v_cvt_f16_f32_e32 v86, v45
	v_cvt_f16_f32_e32 v82, v44
	v_pk_fma_f32 v[4:5], v[4:5], v[44:45], v[42:43]
	v_pack_b32_f16 v42, v47, v46
	ds_write_b32 v34, v42
	ds_write_b128 v35, v[14:17]
	s_waitcnt lgkmcnt(0)
	s_barrier
	ds_read2_b64 v[14:17], v38 offset1:32
	ds_read_b128 v[42:45], v33
	ds_read_b128 v[46:49], v33 offset:16
	ds_read_b128 v[50:53], v33 offset:32
	;; [unrolled: 1-line block ×3, first 2 shown]
	ds_read2_b64 v[58:61], v38 offset0:64 offset1:96
	ds_read2_b64 v[62:65], v38 offset0:128 offset1:160
	;; [unrolled: 1-line block ×3, first 2 shown]
	ds_read2_b64 v[70:73], v41 offset1:32
	ds_read2_b64 v[74:77], v41 offset0:64 offset1:96
	ds_read2_b64 v[78:81], v41 offset0:128 offset1:160
	s_waitcnt lgkmcnt(9)
	v_pk_mul_f16 v83, v14, v42 op_sel_hi:[1,0]
	v_pk_mul_f16 v84, v15, v42 op_sel_hi:[1,0]
	v_pk_mul_f16 v14, v14, v42 op_sel:[0,1]
	v_pk_mul_f16 v19, v86, v19 op_sel_hi:[0,1]
	v_pk_fma_f16 v20, v82, v20, v83 op_sel_hi:[0,1,1]
	v_pk_fma_f16 v2, v82, v2, v84 op_sel_hi:[0,1,1]
	ds_read2_b64 v[82:85], v41 offset0:192 offset1:224
	s_waitcnt lgkmcnt(0)
	s_barrier
	v_pk_fma_f16 v7, v86, v7, v14 op_sel_hi:[0,1,1]
	global_load_dwordx4 v[86:89], v[12:13], off
	v_pk_fma_f16 v12, v15, v42, v19 op_sel:[0,1,0]
	v_pk_fma_f16 v12, v17, v43, v12 op_sel:[0,1,0]
	v_pk_fma_f16 v13, v16, v43, v20 op_sel_hi:[1,0,1]
	v_pk_fma_f16 v7, v16, v43, v7 op_sel:[0,1,0]
	v_pk_fma_f16 v2, v17, v43, v2 op_sel_hi:[1,0,1]
	;; [unrolled: 2-line block ×30, first 2 shown]
	v_mov_b32_e32 v8, v10
	v_mov_b32_e32 v9, v11
	s_waitcnt vmcnt(0)
	ds_write_b128 v35, v[86:89]
	s_waitcnt lgkmcnt(0)
	s_barrier
	ds_read2_b64 v[12:15], v38 offset1:32
	ds_read_b128 v[42:45], v33 offset:64
	ds_read_b128 v[46:49], v33 offset:80
	;; [unrolled: 1-line block ×4, first 2 shown]
	ds_read2_b64 v[58:61], v38 offset0:64 offset1:96
	ds_read2_b64 v[62:65], v38 offset0:128 offset1:160
	ds_read2_b64 v[66:69], v38 offset0:192 offset1:224
	ds_read2_b64 v[70:73], v41 offset1:32
	ds_read2_b64 v[74:77], v41 offset0:64 offset1:96
	ds_read2_b64 v[78:81], v41 offset0:128 offset1:160
	;; [unrolled: 1-line block ×3, first 2 shown]
	s_waitcnt lgkmcnt(10)
	v_pk_fma_f16 v17, v12, v42, v17 op_sel_hi:[1,0,1]
	v_pk_fma_f16 v7, v12, v42, v7 op_sel:[0,1,0]
	v_pk_fma_f16 v2, v13, v42, v2 op_sel_hi:[1,0,1]
	v_pk_fma_f16 v12, v13, v42, v16 op_sel:[0,1,0]
	v_pk_fma_f16 v13, v14, v43, v17 op_sel_hi:[1,0,1]
	v_pk_fma_f16 v7, v14, v43, v7 op_sel:[0,1,0]
	v_pk_fma_f16 v2, v15, v43, v2 op_sel_hi:[1,0,1]
	v_pk_fma_f16 v12, v15, v43, v12 op_sel:[0,1,0]
	s_waitcnt lgkmcnt(6)
	v_pk_fma_f16 v13, v58, v44, v13 op_sel_hi:[1,0,1]
	v_pk_fma_f16 v7, v58, v44, v7 op_sel:[0,1,0]
	v_pk_fma_f16 v2, v59, v44, v2 op_sel_hi:[1,0,1]
	v_pk_fma_f16 v12, v59, v44, v12 op_sel:[0,1,0]
	v_pk_fma_f16 v13, v60, v45, v13 op_sel_hi:[1,0,1]
	v_pk_fma_f16 v7, v60, v45, v7 op_sel:[0,1,0]
	v_pk_fma_f16 v2, v61, v45, v2 op_sel_hi:[1,0,1]
	v_pk_fma_f16 v12, v61, v45, v12 op_sel:[0,1,0]
	;; [unrolled: 9-line block ×4, first 2 shown]
	s_waitcnt lgkmcnt(0)
	s_barrier
	s_load_dword s0, s[18:19], 0x4
	v_pk_fma_f16 v13, v70, v50, v13 op_sel_hi:[1,0,1]
	v_pk_fma_f16 v7, v70, v50, v7 op_sel:[0,1,0]
	v_pk_fma_f16 v2, v71, v50, v2 op_sel_hi:[1,0,1]
	v_pk_fma_f16 v12, v71, v50, v12 op_sel:[0,1,0]
	;; [unrolled: 2-line block ×10, first 2 shown]
	s_waitcnt lgkmcnt(0)
	s_lshl_b32 s0, s0, 5
	v_pk_fma_f16 v13, v80, v55, v13 op_sel_hi:[1,0,1]
	v_pk_fma_f16 v7, v80, v55, v7 op_sel:[0,1,0]
	v_pk_fma_f16 v2, v81, v55, v2 op_sel_hi:[1,0,1]
	v_pk_fma_f16 v12, v81, v55, v12 op_sel:[0,1,0]
	s_add_i32 s22, s0, s22
	v_pk_fma_f16 v13, v82, v56, v13 op_sel_hi:[1,0,1]
	v_pk_fma_f16 v7, v82, v56, v7 op_sel:[0,1,0]
	v_pk_fma_f16 v2, v83, v56, v2 op_sel_hi:[1,0,1]
	v_pk_fma_f16 v12, v83, v56, v12 op_sel:[0,1,0]
	s_cmp_ge_i32 s22, s34
	v_pk_fma_f16 v20, v84, v57, v13 op_sel_hi:[1,0,1]
	v_pk_fma_f16 v7, v84, v57, v7 op_sel:[0,1,0]
	v_pk_fma_f16 v2, v85, v57, v2 op_sel_hi:[1,0,1]
	v_pk_fma_f16 v19, v85, v57, v12 op_sel:[0,1,0]
	s_cbranch_scc0 .LBB13_13
.LBB13_14:
	v_cmp_lt_i32_e32 vcc, v27, v22
	v_cndmask_b32_e32 v6, v21, v27, vcc
	v_lshlrev_b32_e32 v6, 2, v6
	ds_bpermute_b32 v8, v6, v4
	ds_bpermute_b32 v9, v6, v5
	v_cmp_lt_i32_e32 vcc, v26, v22
	v_cndmask_b32_e32 v6, v21, v26, vcc
	v_lshlrev_b32_e32 v6, 2, v6
	v_cmp_lt_i32_e32 vcc, v25, v22
	s_waitcnt lgkmcnt(0)
	v_pk_add_f32 v[4:5], v[4:5], v[8:9]
	ds_bpermute_b32 v8, v6, v4
	ds_bpermute_b32 v9, v6, v5
	v_cndmask_b32_e32 v6, v21, v25, vcc
	v_lshlrev_b32_e32 v6, 2, v6
	v_cmp_lt_i32_e32 vcc, v24, v22
	s_cmp_lg_u64 s[20:21], 0
	s_waitcnt lgkmcnt(0)
	v_pk_add_f32 v[4:5], v[4:5], v[8:9]
	ds_bpermute_b32 v8, v6, v4
	ds_bpermute_b32 v9, v6, v5
	v_cndmask_b32_e32 v6, v21, v24, vcc
	v_lshlrev_b32_e32 v6, 2, v6
	v_cmp_lt_i32_e32 vcc, v23, v22
	s_cselect_b64 s[0:1], -1, 0
	s_waitcnt lgkmcnt(0)
	v_pk_add_f32 v[4:5], v[4:5], v[8:9]
	ds_bpermute_b32 v8, v6, v4
	ds_bpermute_b32 v9, v6, v5
	v_cndmask_b32_e32 v6, v21, v23, vcc
	v_lshlrev_b32_e32 v6, 2, v6
	s_cmp_eq_u32 s7, 0
	s_cselect_b64 s[2:3], -1, 0
	s_waitcnt lgkmcnt(0)
	v_pk_add_f32 v[4:5], v[4:5], v[8:9]
	ds_bpermute_b32 v8, v6, v4
	ds_bpermute_b32 v9, v6, v5
	s_and_b64 s[0:1], s[2:3], s[0:1]
	s_and_b64 vcc, exec, s[0:1]
	s_waitcnt lgkmcnt(0)
	v_pk_add_f32 v[4:5], v[4:5], v[8:9]
	s_cbranch_vccz .LBB13_16
; %bb.15:
	v_add_u32_e32 v8, s35, v18
	v_ashrrev_i32_e32 v9, 31, v8
	v_lshlrev_b64 v[8:9], 2, v[8:9]
	v_mov_b32_e32 v6, s21
	v_add_co_u32_e32 v8, vcc, s20, v8
	v_addc_co_u32_e32 v9, vcc, v6, v9, vcc
	global_load_dwordx2 v[8:9], v[8:9], off
	v_max_f32_e32 v6, v11, v11
	v_max_f32_e32 v12, v10, v10
	s_mov_b32 s0, 0x3fb8aa3b
	s_mov_b32 s1, 0xc2ce8ed0
	s_mov_b32 s2, 0x42b17218
	v_mov_b32_e32 v14, 0x7f800000
	s_waitcnt vmcnt(0)
	v_max_f32_e32 v13, v9, v9
	v_max_f32_e32 v15, v8, v8
	;; [unrolled: 1-line block ×4, first 2 shown]
	v_pk_add_f32 v[10:11], v[10:11], v[12:13] neg_lo:[0,1] neg_hi:[0,1]
	v_mul_f32_e32 v6, 0x3fb8aa3b, v11
	v_pk_add_f32 v[8:9], v[8:9], v[12:13] neg_lo:[0,1] neg_hi:[0,1]
	v_mul_f32_e32 v15, 0x3fb8aa3b, v10
	v_fma_f32 v21, v11, s0, -v6
	v_rndne_f32_e32 v22, v6
	v_mul_f32_e32 v16, 0x3fb8aa3b, v9
	v_fma_f32 v23, v10, s0, -v15
	v_rndne_f32_e32 v24, v15
	v_fmac_f32_e32 v21, 0x32a5705f, v11
	v_sub_f32_e32 v6, v6, v22
	v_mul_f32_e32 v17, 0x3fb8aa3b, v8
	v_fma_f32 v25, v9, s0, -v16
	v_rndne_f32_e32 v26, v16
	v_fmac_f32_e32 v23, 0x32a5705f, v10
	v_sub_f32_e32 v15, v15, v24
	v_add_f32_e32 v6, v6, v21
	v_fma_f32 v27, v8, s0, -v17
	v_rndne_f32_e32 v28, v17
	v_cvt_i32_f32_e32 v22, v22
	v_fmac_f32_e32 v25, 0x32a5705f, v9
	v_sub_f32_e32 v16, v16, v26
	v_add_f32_e32 v15, v15, v23
	v_exp_f32_e32 v6, v6
	v_cvt_i32_f32_e32 v24, v24
	v_fmac_f32_e32 v27, 0x32a5705f, v8
	v_sub_f32_e32 v17, v17, v28
	v_add_f32_e32 v16, v16, v25
	v_exp_f32_e32 v15, v15
	v_cvt_i32_f32_e32 v26, v26
	v_add_f32_e32 v17, v17, v27
	v_exp_f32_e32 v16, v16
	v_cvt_i32_f32_e32 v28, v28
	v_exp_f32_e32 v17, v17
	v_ldexp_f32 v6, v6, v22
	v_cmp_ngt_f32_e32 vcc, s1, v11
	v_ldexp_f32 v15, v15, v24
	v_cndmask_b32_e32 v6, 0, v6, vcc
	v_cmp_ngt_f32_e32 vcc, s1, v10
	v_ldexp_f32 v16, v16, v26
	v_cndmask_b32_e32 v15, 0, v15, vcc
	;; [unrolled: 3-line block ×3, first 2 shown]
	v_cmp_ngt_f32_e32 vcc, s1, v8
	v_cndmask_b32_e32 v17, 0, v17, vcc
	v_cmp_nlt_f32_e32 vcc, s2, v11
	v_cndmask_b32_e32 v11, v14, v6, vcc
	v_cmp_nlt_f32_e32 vcc, s2, v10
	;; [unrolled: 2-line block ×4, first 2 shown]
	v_cvt_f16_f32_e32 v6, v10
	v_cndmask_b32_e32 v8, v14, v17, vcc
	v_cvt_f16_f32_e32 v14, v11
	v_pk_fma_f32 v[4:5], v[4:5], v[10:11], v[8:9]
	v_pk_mul_f16 v20, v6, v20 op_sel_hi:[0,1]
	v_pk_mul_f16 v2, v6, v2 op_sel_hi:[0,1]
	;; [unrolled: 1-line block ×4, first 2 shown]
	v_pk_mov_b32 v[10:11], v[12:13], v[12:13] op_sel:[0,1]
.LBB13_16:
	v_cmp_gt_i32_e32 vcc, s30, v1
	s_and_saveexec_b64 s[0:1], vcc
	s_cbranch_execz .LBB13_25
; %bb.17:
	s_load_dword s6, s[4:5], 0xd4
	v_mov_b32_e32 v6, 1.0
	s_waitcnt lgkmcnt(0)
	s_cmp_lg_u32 s6, 1
	s_cselect_b64 s[0:1], -1, 0
	s_cmp_eq_u32 s6, 1
	s_cselect_b64 s[2:3], -1, 0
	s_and_b64 vcc, exec, s[0:1]
	s_cbranch_vccnz .LBB13_19
; %bb.18:
	v_div_scale_f32 v6, s[4:5], v4, v4, 1.0
	v_rcp_f32_e32 v8, v6
	v_div_scale_f32 v9, vcc, 1.0, v4, 1.0
	v_fma_f32 v12, -v6, v8, 1.0
	v_fmac_f32_e32 v8, v12, v8
	v_mul_f32_e32 v12, v9, v8
	v_fma_f32 v13, -v6, v12, v9
	v_fmac_f32_e32 v12, v13, v8
	v_fma_f32 v6, -v6, v12, v9
	v_div_fmas_f32 v6, v6, v8, v12
	v_div_fixup_f32 v6, v6, v4, 1.0
.LBB13_19:
	s_mul_i32 s33, s33, s30
	v_add_u32_e32 v1, s33, v1
	v_mul_lo_u32 v1, v1, s31
	v_add3_u32 v1, s35, v18, v1
	v_cmp_eq_u32_e32 vcc, 0, v0
	v_mul_lo_u32 v0, s6, v1
	v_add_u32_e32 v0, s7, v0
	v_cvt_f32_f16_sdwa v13, v20 dst_sel:DWORD dst_unused:UNUSED_PAD src0_sel:WORD_1
	v_cvt_f32_f16_e32 v12, v20
	v_cvt_f32_f16_sdwa v15, v2 dst_sel:DWORD dst_unused:UNUSED_PAD src0_sel:WORD_1
	v_cvt_f32_f16_e32 v14, v2
	v_lshl_add_u32 v8, v0, 7, v3
	v_mov_b32_e32 v9, 0
	v_lshlrev_b64 v[8:9], 2, v[8:9]
	s_and_b64 s[0:1], vcc, s[0:1]
	v_mov_b32_e32 v1, s25
	v_add_co_u32_e32 v8, vcc, s24, v8
	v_addc_co_u32_e32 v9, vcc, v1, v9, vcc
	v_pk_mul_f32 v[12:13], v[6:7], v[12:13] op_sel_hi:[0,1]
	v_pk_mul_f32 v[14:15], v[6:7], v[14:15] op_sel_hi:[0,1]
	global_store_dwordx4 v[8:9], v[12:15], off
	s_and_saveexec_b64 s[4:5], s[0:1]
	s_cbranch_execz .LBB13_21
; %bb.20:
	v_ashrrev_i32_e32 v1, 31, v0
	v_lshlrev_b64 v[8:9], 3, v[0:1]
	v_mov_b32_e32 v1, s27
	v_add_co_u32_e32 v8, vcc, s26, v8
	v_addc_co_u32_e32 v9, vcc, v1, v9, vcc
	v_mov_b32_e32 v12, v10
	v_mov_b32_e32 v13, v4
	global_store_dwordx2 v[8:9], v[12:13], off
.LBB13_21:
	s_or_b64 exec, exec, s[4:5]
	s_andn2_b64 vcc, exec, s[2:3]
	v_mov_b32_e32 v2, 1.0
	s_cbranch_vccnz .LBB13_23
; %bb.22:
	v_div_scale_f32 v1, s[2:3], v5, v5, 1.0
	v_rcp_f32_e32 v2, v1
	v_div_scale_f32 v4, vcc, 1.0, v5, 1.0
	v_fma_f32 v6, -v1, v2, 1.0
	v_fmac_f32_e32 v2, v6, v2
	v_mul_f32_e32 v6, v4, v2
	v_fma_f32 v8, -v1, v6, v4
	v_fmac_f32_e32 v6, v8, v2
	v_fma_f32 v1, -v1, v6, v4
	v_div_fmas_f32 v1, v1, v2, v6
	v_div_fixup_f32 v2, v1, v5, 1.0
.LBB13_23:
	v_add_u32_e32 v0, s6, v0
	v_cvt_f32_f16_sdwa v13, v7 dst_sel:DWORD dst_unused:UNUSED_PAD src0_sel:WORD_1
	v_cvt_f32_f16_e32 v12, v7
	v_cvt_f32_f16_sdwa v15, v19 dst_sel:DWORD dst_unused:UNUSED_PAD src0_sel:WORD_1
	v_cvt_f32_f16_e32 v14, v19
	v_lshl_add_u32 v8, v0, 7, v3
	v_mov_b32_e32 v9, 0
	v_lshlrev_b64 v[8:9], 2, v[8:9]
	v_mov_b32_e32 v1, s25
	v_add_co_u32_e32 v16, vcc, s24, v8
	v_addc_co_u32_e32 v17, vcc, v1, v9, vcc
	v_pk_mul_f32 v[6:7], v[2:3], v[12:13] op_sel_hi:[0,1]
	v_pk_mul_f32 v[8:9], v[2:3], v[14:15] op_sel_hi:[0,1]
	global_store_dwordx4 v[16:17], v[6:9], off
	s_and_b64 exec, exec, s[0:1]
	s_cbranch_execz .LBB13_25
; %bb.24:
	v_ashrrev_i32_e32 v1, 31, v0
	v_lshlrev_b64 v[0:1], 3, v[0:1]
	v_mov_b32_e32 v2, s27
	v_add_co_u32_e32 v0, vcc, s26, v0
	v_addc_co_u32_e32 v1, vcc, v2, v1, vcc
	v_mov_b32_e32 v4, v11
	global_store_dwordx2 v[0:1], v[4:5], off
.LBB13_25:
	s_endpgm
	.section	.rodata,"a",@progbits
	.p2align	6, 0x0
	.amdhsa_kernel _ZL15flash_attn_tileILi192ELi128ELi2ELi8ELb0EEvPKcS1_S1_S1_S1_PKiPfP15HIP_vector_typeIfLj2EEffffjfiS5_IjLj3EEiiiiiiiiiiiliiliiiiil
		.amdhsa_group_segment_fixed_size 11776
		.amdhsa_private_segment_fixed_size 0
		.amdhsa_kernarg_size 464
		.amdhsa_user_sgpr_count 6
		.amdhsa_user_sgpr_private_segment_buffer 1
		.amdhsa_user_sgpr_dispatch_ptr 0
		.amdhsa_user_sgpr_queue_ptr 0
		.amdhsa_user_sgpr_kernarg_segment_ptr 1
		.amdhsa_user_sgpr_dispatch_id 0
		.amdhsa_user_sgpr_flat_scratch_init 0
		.amdhsa_user_sgpr_kernarg_preload_length 0
		.amdhsa_user_sgpr_kernarg_preload_offset 0
		.amdhsa_user_sgpr_private_segment_size 0
		.amdhsa_uses_dynamic_stack 0
		.amdhsa_system_sgpr_private_segment_wavefront_offset 0
		.amdhsa_system_sgpr_workgroup_id_x 1
		.amdhsa_system_sgpr_workgroup_id_y 1
		.amdhsa_system_sgpr_workgroup_id_z 1
		.amdhsa_system_sgpr_workgroup_info 0
		.amdhsa_system_vgpr_workitem_id 1
		.amdhsa_next_free_vgpr 90
		.amdhsa_next_free_sgpr 41
		.amdhsa_accum_offset 92
		.amdhsa_reserve_vcc 1
		.amdhsa_reserve_flat_scratch 0
		.amdhsa_float_round_mode_32 0
		.amdhsa_float_round_mode_16_64 0
		.amdhsa_float_denorm_mode_32 3
		.amdhsa_float_denorm_mode_16_64 3
		.amdhsa_dx10_clamp 1
		.amdhsa_ieee_mode 1
		.amdhsa_fp16_overflow 0
		.amdhsa_tg_split 0
		.amdhsa_exception_fp_ieee_invalid_op 0
		.amdhsa_exception_fp_denorm_src 0
		.amdhsa_exception_fp_ieee_div_zero 0
		.amdhsa_exception_fp_ieee_overflow 0
		.amdhsa_exception_fp_ieee_underflow 0
		.amdhsa_exception_fp_ieee_inexact 0
		.amdhsa_exception_int_div_zero 0
	.end_amdhsa_kernel
	.section	.text._ZL15flash_attn_tileILi192ELi128ELi2ELi8ELb0EEvPKcS1_S1_S1_S1_PKiPfP15HIP_vector_typeIfLj2EEffffjfiS5_IjLj3EEiiiiiiiiiiiliiliiiiil,"axG",@progbits,_ZL15flash_attn_tileILi192ELi128ELi2ELi8ELb0EEvPKcS1_S1_S1_S1_PKiPfP15HIP_vector_typeIfLj2EEffffjfiS5_IjLj3EEiiiiiiiiiiiliiliiiiil,comdat
.Lfunc_end13:
	.size	_ZL15flash_attn_tileILi192ELi128ELi2ELi8ELb0EEvPKcS1_S1_S1_S1_PKiPfP15HIP_vector_typeIfLj2EEffffjfiS5_IjLj3EEiiiiiiiiiiiliiliiiiil, .Lfunc_end13-_ZL15flash_attn_tileILi192ELi128ELi2ELi8ELb0EEvPKcS1_S1_S1_S1_PKiPfP15HIP_vector_typeIfLj2EEffffjfiS5_IjLj3EEiiiiiiiiiiiliiliiiiil
                                        ; -- End function
	.section	.AMDGPU.csdata,"",@progbits
; Kernel info:
; codeLenInByte = 7696
; NumSgprs: 45
; NumVgprs: 90
; NumAgprs: 0
; TotalNumVgprs: 90
; ScratchSize: 0
; MemoryBound: 0
; FloatMode: 240
; IeeeMode: 1
; LDSByteSize: 11776 bytes/workgroup (compile time only)
; SGPRBlocks: 5
; VGPRBlocks: 11
; NumSGPRsForWavesPerEU: 45
; NumVGPRsForWavesPerEU: 90
; AccumOffset: 92
; Occupancy: 5
; WaveLimiterHint : 1
; COMPUTE_PGM_RSRC2:SCRATCH_EN: 0
; COMPUTE_PGM_RSRC2:USER_SGPR: 6
; COMPUTE_PGM_RSRC2:TRAP_HANDLER: 0
; COMPUTE_PGM_RSRC2:TGID_X_EN: 1
; COMPUTE_PGM_RSRC2:TGID_Y_EN: 1
; COMPUTE_PGM_RSRC2:TGID_Z_EN: 1
; COMPUTE_PGM_RSRC2:TIDIG_COMP_CNT: 1
; COMPUTE_PGM_RSRC3_GFX90A:ACCUM_OFFSET: 22
; COMPUTE_PGM_RSRC3_GFX90A:TG_SPLIT: 0
	.section	.text._ZL33flash_attn_stream_k_fixup_uniformILi128ELi2ELi8EEvPfPK15HIP_vector_typeIfLj2EEiiiiiiS1_IjLj3EES5_S5_,"axG",@progbits,_ZL33flash_attn_stream_k_fixup_uniformILi128ELi2ELi8EEvPfPK15HIP_vector_typeIfLj2EEiiiiiiS1_IjLj3EES5_S5_,comdat
	.globl	_ZL33flash_attn_stream_k_fixup_uniformILi128ELi2ELi8EEvPfPK15HIP_vector_typeIfLj2EEiiiiiiS1_IjLj3EES5_S5_ ; -- Begin function _ZL33flash_attn_stream_k_fixup_uniformILi128ELi2ELi8EEvPfPK15HIP_vector_typeIfLj2EEiiiiiiS1_IjLj3EES5_S5_
	.p2align	8
	.type	_ZL33flash_attn_stream_k_fixup_uniformILi128ELi2ELi8EEvPfPK15HIP_vector_typeIfLj2EEiiiiiiS1_IjLj3EES5_S5_,@function
_ZL33flash_attn_stream_k_fixup_uniformILi128ELi2ELi8EEvPfPK15HIP_vector_typeIfLj2EEiiiiiiS1_IjLj3EES5_S5_: ; @_ZL33flash_attn_stream_k_fixup_uniformILi128ELi2ELi8EEvPfPK15HIP_vector_typeIfLj2EEiiiiiiS1_IjLj3EES5_S5_
; %bb.0:
	s_load_dwordx8 s[12:19], s[4:5], 0x1c
	s_load_dwordx2 s[10:11], s[4:5], 0x10
	s_load_dwordx4 s[0:3], s[4:5], 0x3c
	s_waitcnt lgkmcnt(0)
	s_mul_hi_u32 s9, s15, s6
	s_add_i32 s9, s6, s9
	s_lshr_b32 s9, s9, s16
	s_mul_i32 s15, s9, s17
	s_sub_i32 s15, s6, s15
	s_mul_hi_u32 s16, s15, s18
	s_add_i32 s16, s15, s16
	s_lshr_b32 s16, s16, s19
	s_mul_i32 s0, s16, s0
	s_sub_i32 s0, s15, s0
	;; [unrolled: 5-line block ×3, first 2 shown]
	s_lshl_b32 s0, s17, 1
	s_lshl_b32 s15, s1, 3
	s_add_i32 s0, s0, s7
	s_cmp_lt_i32 s0, s10
	s_cselect_b64 s[0:1], -1, 0
	s_add_i32 s2, s15, s8
	s_cmp_lt_i32 s2, s13
	s_cselect_b64 s[2:3], -1, 0
	s_and_b64 s[0:1], s[0:1], s[2:3]
	s_andn2_b64 vcc, exec, s[0:1]
	s_cbranch_vccnz .LBB14_6
; %bb.1:
	s_load_dwordx4 s[0:3], s[4:5], 0x0
	s_mul_i32 s4, s9, s10
	s_add_i32 s4, s4, s7
	s_mul_i32 s4, s4, s11
	s_mul_i32 s16, s16, s13
	s_add_i32 s4, s4, s8
	s_add_i32 s4, s4, s16
	s_mul_i32 s5, s11, s17
	s_add_i32 s4, s4, s15
	s_lshl_b32 s5, s5, 8
	s_lshl_b32 s4, s4, 7
	s_add_i32 s5, s5, s4
	v_or_b32_e32 v2, s5, v0
	v_ashrrev_i32_e32 v3, 31, v2
	v_lshlrev_b64 v[2:3], 2, v[2:3]
	s_waitcnt lgkmcnt(0)
	v_mov_b32_e32 v1, s1
	v_add_co_u32_e32 v2, vcc, s0, v2
	v_addc_co_u32_e32 v3, vcc, v1, v3, vcc
	global_load_dword v8, v[2:3], off
	s_mul_i32 s9, s6, s14
	s_lshl_b32 s4, s7, 3
	s_add_i32 s11, s9, s14
	s_add_i32 s0, s4, s8
	s_lshl_b32 s1, s11, 4
	s_add_i32 s0, s0, s1
	s_add_i32 s0, s0, -16
	s_ashr_i32 s1, s0, 31
	s_lshl_b64 s[0:1], s[0:1], 3
	s_add_u32 s0, s2, s0
	s_addc_u32 s1, s3, s1
	s_load_dword s5, s[0:1], 0x4
	s_add_i32 s10, s11, -2
	s_cmp_lt_i32 s10, s9
	s_cbranch_scc1 .LBB14_4
; %bb.2:
	s_lshl_b32 s16, s12, 6
	s_ashr_i32 s17, s16, 31
	s_lshl_b64 s[16:17], s[16:17], 2
	s_add_u32 s10, s2, s16
	s_addc_u32 s13, s3, s17
	s_add_i32 s6, s6, 1
	s_load_dword s0, s[0:1], 0x0
	s_mul_i32 s1, s14, s6
	s_lshl_b32 s7, s7, 10
	s_lshl_b32 s14, s8, 7
	;; [unrolled: 1-line block ×3, first 2 shown]
	s_add_i32 s7, s14, s7
	s_lshl_b32 s1, s1, 4
	s_add_i32 s7, s7, s6
	s_add_i32 s1, s8, s1
	s_lshl_b32 s6, s12, 4
	s_add_i32 s1, s1, s6
	v_or_b32_e32 v0, s7, v0
	s_add_i32 s1, s1, s4
	s_add_i32 s11, s11, -1
	v_add_u32_e32 v0, 0xfffff000, v0
	s_sub_i32 s4, s1, 32
	s_waitcnt lgkmcnt(0)
	v_mov_b32_e32 v7, s5
	v_mov_b32_e32 v6, s0
	;; [unrolled: 1-line block ×3, first 2 shown]
	s_mov_b32 s6, 0x3fb8aa3b
	s_mov_b32 s7, 0xc2ce8ed0
	;; [unrolled: 1-line block ×3, first 2 shown]
	v_mov_b32_e32 v5, 0x7f800000
	s_mov_b32 s12, 0xc1a00000
.LBB14_3:                               ; =>This Inner Loop Header: Depth=1
	v_ashrrev_i32_e32 v1, 31, v0
	v_lshlrev_b64 v[10:11], 2, v[0:1]
	v_add_co_u32_e32 v10, vcc, s10, v10
	v_addc_co_u32_e32 v11, vcc, v4, v11, vcc
	global_load_dword v1, v[10:11], off
	s_ashr_i32 s5, s4, 31
	s_lshl_b64 s[0:1], s[4:5], 3
	s_add_u32 s0, s2, s0
	s_addc_u32 s1, s3, s1
	s_load_dwordx2 s[14:15], s[0:1], 0x0
	s_waitcnt vmcnt(1)
	v_mov_b32_e32 v9, v8
	v_max_f32_e32 v8, v6, v6
	v_mov_b32_e32 v10, v7
	s_add_i32 s11, s11, -1
	s_waitcnt lgkmcnt(0)
	v_max_f32_e64 v7, s14, s14
	v_max_f32_e32 v7, v8, v7
	v_sub_f32_e32 v11, s14, v7
	v_sub_f32_e32 v8, v6, v7
	v_mul_f32_e32 v12, 0x3fb8aa3b, v11
	v_mov_b32_e32 v6, v7
	v_mul_f32_e32 v7, 0x3fb8aa3b, v8
	v_fma_f32 v15, v11, s6, -v12
	v_rndne_f32_e32 v16, v12
	v_fma_f32 v13, v8, s6, -v7
	v_rndne_f32_e32 v14, v7
	v_fmac_f32_e32 v15, 0x32a5705f, v11
	v_sub_f32_e32 v12, v12, v16
	v_fmac_f32_e32 v13, 0x32a5705f, v8
	v_sub_f32_e32 v7, v7, v14
	v_add_f32_e32 v12, v12, v15
	v_cvt_i32_f32_e32 v16, v16
	v_add_f32_e32 v7, v7, v13
	v_exp_f32_e32 v12, v12
	v_cvt_i32_f32_e32 v14, v14
	v_exp_f32_e32 v7, v7
	v_cmp_ngt_f32_e32 vcc, s7, v11
	v_ldexp_f32 v12, v12, v16
	v_cmp_ngt_f32_e64 s[0:1], s7, v8
	v_ldexp_f32 v7, v7, v14
	v_cndmask_b32_e32 v12, 0, v12, vcc
	v_cmp_nlt_f32_e32 vcc, s8, v11
	v_cndmask_b32_e64 v7, 0, v7, s[0:1]
	v_cmp_nlt_f32_e64 s[0:1], s8, v8
	v_cndmask_b32_e32 v12, v5, v12, vcc
	v_cmp_le_f32_e32 vcc, s12, v11
	v_cndmask_b32_e64 v7, v5, v7, s[0:1]
	v_cmp_le_f32_e64 s[0:1], s12, v8
	v_cndmask_b32_e32 v8, 0, v12, vcc
	s_add_i32 s4, s4, -16
	v_cndmask_b32_e64 v11, 0, v7, s[0:1]
	v_mul_f32_e32 v7, s15, v8
	v_add_u32_e32 v0, 0xfffff800, v0
	s_cmp_le_i32 s11, s9
	v_fmac_f32_e32 v7, v10, v11
	s_waitcnt vmcnt(0)
	v_mul_f32_e32 v8, v1, v8
	v_fmac_f32_e32 v8, v9, v11
	s_cbranch_scc0 .LBB14_3
	s_branch .LBB14_5
.LBB14_4:
	s_waitcnt lgkmcnt(0)
	v_mov_b32_e32 v7, s5
.LBB14_5:
	s_waitcnt vmcnt(0)
	v_div_scale_f32 v0, s[0:1], v7, v7, v8
	v_rcp_f32_e32 v1, v0
	v_div_scale_f32 v4, vcc, v8, v7, v8
	v_fma_f32 v5, -v0, v1, 1.0
	v_fmac_f32_e32 v1, v5, v1
	v_mul_f32_e32 v5, v4, v1
	v_fma_f32 v6, -v0, v5, v4
	v_fmac_f32_e32 v5, v6, v1
	v_fma_f32 v0, -v0, v5, v4
	v_div_fmas_f32 v0, v0, v1, v5
	v_div_fixup_f32 v0, v0, v7, v8
	global_store_dword v[2:3], v0, off
.LBB14_6:
	s_endpgm
	.section	.rodata,"a",@progbits
	.p2align	6, 0x0
	.amdhsa_kernel _ZL33flash_attn_stream_k_fixup_uniformILi128ELi2ELi8EEvPfPK15HIP_vector_typeIfLj2EEiiiiiiS1_IjLj3EES5_S5_
		.amdhsa_group_segment_fixed_size 0
		.amdhsa_private_segment_fixed_size 0
		.amdhsa_kernarg_size 76
		.amdhsa_user_sgpr_count 6
		.amdhsa_user_sgpr_private_segment_buffer 1
		.amdhsa_user_sgpr_dispatch_ptr 0
		.amdhsa_user_sgpr_queue_ptr 0
		.amdhsa_user_sgpr_kernarg_segment_ptr 1
		.amdhsa_user_sgpr_dispatch_id 0
		.amdhsa_user_sgpr_flat_scratch_init 0
		.amdhsa_user_sgpr_kernarg_preload_length 0
		.amdhsa_user_sgpr_kernarg_preload_offset 0
		.amdhsa_user_sgpr_private_segment_size 0
		.amdhsa_uses_dynamic_stack 0
		.amdhsa_system_sgpr_private_segment_wavefront_offset 0
		.amdhsa_system_sgpr_workgroup_id_x 1
		.amdhsa_system_sgpr_workgroup_id_y 1
		.amdhsa_system_sgpr_workgroup_id_z 1
		.amdhsa_system_sgpr_workgroup_info 0
		.amdhsa_system_vgpr_workitem_id 0
		.amdhsa_next_free_vgpr 17
		.amdhsa_next_free_sgpr 20
		.amdhsa_accum_offset 20
		.amdhsa_reserve_vcc 1
		.amdhsa_reserve_flat_scratch 0
		.amdhsa_float_round_mode_32 0
		.amdhsa_float_round_mode_16_64 0
		.amdhsa_float_denorm_mode_32 3
		.amdhsa_float_denorm_mode_16_64 3
		.amdhsa_dx10_clamp 1
		.amdhsa_ieee_mode 1
		.amdhsa_fp16_overflow 0
		.amdhsa_tg_split 0
		.amdhsa_exception_fp_ieee_invalid_op 0
		.amdhsa_exception_fp_denorm_src 0
		.amdhsa_exception_fp_ieee_div_zero 0
		.amdhsa_exception_fp_ieee_overflow 0
		.amdhsa_exception_fp_ieee_underflow 0
		.amdhsa_exception_fp_ieee_inexact 0
		.amdhsa_exception_int_div_zero 0
	.end_amdhsa_kernel
	.section	.text._ZL33flash_attn_stream_k_fixup_uniformILi128ELi2ELi8EEvPfPK15HIP_vector_typeIfLj2EEiiiiiiS1_IjLj3EES5_S5_,"axG",@progbits,_ZL33flash_attn_stream_k_fixup_uniformILi128ELi2ELi8EEvPfPK15HIP_vector_typeIfLj2EEiiiiiiS1_IjLj3EES5_S5_,comdat
.Lfunc_end14:
	.size	_ZL33flash_attn_stream_k_fixup_uniformILi128ELi2ELi8EEvPfPK15HIP_vector_typeIfLj2EEiiiiiiS1_IjLj3EES5_S5_, .Lfunc_end14-_ZL33flash_attn_stream_k_fixup_uniformILi128ELi2ELi8EEvPfPK15HIP_vector_typeIfLj2EEiiiiiiS1_IjLj3EES5_S5_
                                        ; -- End function
	.section	.AMDGPU.csdata,"",@progbits
; Kernel info:
; codeLenInByte = 856
; NumSgprs: 24
; NumVgprs: 17
; NumAgprs: 0
; TotalNumVgprs: 17
; ScratchSize: 0
; MemoryBound: 0
; FloatMode: 240
; IeeeMode: 1
; LDSByteSize: 0 bytes/workgroup (compile time only)
; SGPRBlocks: 2
; VGPRBlocks: 2
; NumSGPRsForWavesPerEU: 24
; NumVGPRsForWavesPerEU: 17
; AccumOffset: 20
; Occupancy: 8
; WaveLimiterHint : 0
; COMPUTE_PGM_RSRC2:SCRATCH_EN: 0
; COMPUTE_PGM_RSRC2:USER_SGPR: 6
; COMPUTE_PGM_RSRC2:TRAP_HANDLER: 0
; COMPUTE_PGM_RSRC2:TGID_X_EN: 1
; COMPUTE_PGM_RSRC2:TGID_Y_EN: 1
; COMPUTE_PGM_RSRC2:TGID_Z_EN: 1
; COMPUTE_PGM_RSRC2:TIDIG_COMP_CNT: 0
; COMPUTE_PGM_RSRC3_GFX90A:ACCUM_OFFSET: 4
; COMPUTE_PGM_RSRC3_GFX90A:TG_SPLIT: 0
	.section	.text._ZL33flash_attn_stream_k_fixup_generalILi128ELi2ELi8EEvPfPK15HIP_vector_typeIfLj2EEiiiiS1_IjLj3EES5_S5_S5_,"axG",@progbits,_ZL33flash_attn_stream_k_fixup_generalILi128ELi2ELi8EEvPfPK15HIP_vector_typeIfLj2EEiiiiS1_IjLj3EES5_S5_S5_,comdat
	.globl	_ZL33flash_attn_stream_k_fixup_generalILi128ELi2ELi8EEvPfPK15HIP_vector_typeIfLj2EEiiiiS1_IjLj3EES5_S5_S5_ ; -- Begin function _ZL33flash_attn_stream_k_fixup_generalILi128ELi2ELi8EEvPfPK15HIP_vector_typeIfLj2EEiiiiS1_IjLj3EES5_S5_S5_
	.p2align	8
	.type	_ZL33flash_attn_stream_k_fixup_generalILi128ELi2ELi8EEvPfPK15HIP_vector_typeIfLj2EEiiiiS1_IjLj3EES5_S5_S5_,@function
_ZL33flash_attn_stream_k_fixup_generalILi128ELi2ELi8EEvPfPK15HIP_vector_typeIfLj2EEiiiiS1_IjLj3EES5_S5_S5_: ; @_ZL33flash_attn_stream_k_fixup_generalILi128ELi2ELi8EEvPfPK15HIP_vector_typeIfLj2EEiiiiS1_IjLj3EES5_S5_S5_
; %bb.0:
	s_load_dwordx4 s[12:15], s[4:5], 0x10
	s_load_dword s9, s[4:5], 0x50
	s_mov_b32 s2, 0
	s_waitcnt lgkmcnt(0)
	s_mul_hi_i32 s3, s15, s6
	s_cmp_lg_u64 s[2:3], 0
	s_mul_i32 s2, s15, s6
	s_cbranch_scc0 .LBB15_21
; %bb.1:
	v_cvt_f32_u32_e32 v1, s9
	v_cvt_f32_ubyte0_e32 v2, 0
	s_sub_u32 s10, 0, s9
	s_subb_u32 s11, 0, 0
	v_madmk_f32 v1, v2, 0x4f800000, v1
	v_rcp_f32_e32 v1, v1
	v_mul_f32_e32 v1, 0x5f7ffffc, v1
	v_mul_f32_e32 v2, 0x2f800000, v1
	v_trunc_f32_e32 v2, v2
	v_madmk_f32 v1, v2, 0xcf800000, v1
	v_cvt_u32_f32_e32 v2, v2
	v_cvt_u32_f32_e32 v1, v1
	v_readfirstlane_b32 s16, v2
	v_readfirstlane_b32 s17, v1
	s_mul_i32 s18, s10, s16
	s_mul_hi_u32 s20, s10, s17
	s_mul_i32 s19, s11, s17
	s_add_i32 s18, s20, s18
	s_add_i32 s18, s18, s19
	s_mul_i32 s21, s10, s17
	s_mul_hi_u32 s19, s17, s18
	s_mul_i32 s20, s17, s18
	s_mul_hi_u32 s17, s17, s21
	s_add_u32 s17, s17, s20
	s_addc_u32 s19, 0, s19
	s_mul_hi_u32 s22, s16, s21
	s_mul_i32 s21, s16, s21
	s_add_u32 s17, s17, s21
	s_mul_hi_u32 s20, s16, s18
	s_addc_u32 s17, s19, s22
	s_addc_u32 s19, s20, 0
	s_mul_i32 s18, s16, s18
	s_add_u32 s17, s17, s18
	s_addc_u32 s18, 0, s19
	v_add_co_u32_e32 v1, vcc, s17, v1
	s_cmp_lg_u64 vcc, 0
	s_addc_u32 s16, s16, s18
	v_readfirstlane_b32 s18, v1
	s_mul_i32 s17, s10, s16
	s_mul_hi_u32 s19, s10, s18
	s_add_i32 s17, s19, s17
	s_mul_i32 s11, s11, s18
	s_add_i32 s17, s17, s11
	s_mul_i32 s10, s10, s18
	s_mul_hi_u32 s19, s16, s10
	s_mul_i32 s20, s16, s10
	s_mul_i32 s22, s18, s17
	s_mul_hi_u32 s10, s18, s10
	s_mul_hi_u32 s21, s18, s17
	s_add_u32 s10, s10, s22
	s_addc_u32 s18, 0, s21
	s_add_u32 s10, s10, s20
	s_mul_hi_u32 s11, s16, s17
	s_addc_u32 s10, s18, s19
	s_addc_u32 s11, s11, 0
	s_mul_i32 s17, s16, s17
	s_add_u32 s10, s10, s17
	s_addc_u32 s11, 0, s11
	v_add_co_u32_e32 v1, vcc, s10, v1
	s_cmp_lg_u64 vcc, 0
	s_addc_u32 s18, s16, s11
	s_ashr_i32 s10, s3, 31
	s_add_u32 s16, s2, s10
	s_mov_b32 s11, s10
	s_addc_u32 s17, s3, s10
	s_xor_b64 s[16:17], s[16:17], s[10:11]
	v_readfirstlane_b32 s20, v1
	s_mul_i32 s19, s16, s18
	s_mul_hi_u32 s21, s16, s20
	s_mul_hi_u32 s3, s16, s18
	s_add_u32 s19, s21, s19
	s_addc_u32 s3, 0, s3
	s_mul_hi_u32 s22, s17, s20
	s_mul_i32 s20, s17, s20
	s_add_u32 s19, s19, s20
	s_mul_hi_u32 s21, s17, s18
	s_addc_u32 s3, s3, s22
	s_addc_u32 s19, s21, 0
	s_mul_i32 s18, s17, s18
	s_add_u32 s3, s3, s18
	s_addc_u32 s18, 0, s19
	s_add_u32 s19, s3, 1
	s_addc_u32 s20, s18, 0
	s_add_u32 s21, s3, 2
	s_mul_i32 s23, s9, s18
	s_mul_hi_u32 s24, s9, s3
	s_addc_u32 s22, s18, 0
	s_add_i32 s24, s24, s23
	s_mul_i32 s23, s9, s3
	v_mov_b32_e32 v1, s23
	v_sub_co_u32_e32 v1, vcc, s16, v1
	s_cmp_lg_u64 vcc, 0
	s_subb_u32 s16, s17, s24
	v_subrev_co_u32_e32 v2, vcc, s9, v1
	s_cmp_lg_u64 vcc, 0
	s_subb_u32 s17, s16, 0
	v_readfirstlane_b32 s23, v2
	s_cmp_ge_u32 s23, s9
	s_cselect_b32 s23, -1, 0
	s_cmp_eq_u32 s17, 0
	s_cselect_b32 s17, s23, -1
	s_cmp_lg_u32 s17, 0
	s_cselect_b32 s17, s22, s20
	v_readfirstlane_b32 s20, v1
	s_cselect_b32 s19, s21, s19
	s_cmp_ge_u32 s20, s9
	s_cselect_b32 s20, -1, 0
	s_cmp_eq_u32 s16, 0
	s_cselect_b32 s16, s20, -1
	s_cmp_lg_u32 s16, 0
	s_cselect_b32 s17, s17, s18
	s_cselect_b32 s16, s19, s3
	s_xor_b64 s[16:17], s[16:17], s[10:11]
	s_sub_u32 s20, s16, s10
	s_load_dwordx4 s[16:19], s[4:5], 0x44
	s_cbranch_execnz .LBB15_3
.LBB15_2:
	v_cvt_f32_u32_e32 v1, s9
	s_sub_i32 s0, 0, s9
	v_rcp_iflag_f32_e32 v1, v1
	v_mul_f32_e32 v1, 0x4f7ffffe, v1
	v_cvt_u32_f32_e32 v1, v1
	v_readfirstlane_b32 s1, v1
	s_mul_i32 s0, s0, s1
	s_mul_hi_u32 s0, s1, s0
	s_add_i32 s1, s1, s0
	s_mul_hi_u32 s0, s2, s1
	s_mul_i32 s3, s0, s9
	s_sub_i32 s2, s2, s3
	s_add_i32 s1, s0, 1
	s_sub_i32 s3, s2, s9
	s_cmp_ge_u32 s2, s9
	s_cselect_b32 s0, s1, s0
	s_cselect_b32 s2, s3, s2
	s_add_i32 s1, s0, 1
	s_cmp_ge_u32 s2, s9
	s_cselect_b32 s20, s1, s0
.LBB15_3:
	s_add_i32 s0, s6, 1
	s_mul_hi_i32 s3, s15, s0
	s_mov_b32 s2, 0
	s_cmp_lg_u64 s[2:3], 0
	s_mul_i32 s2, s15, s0
	s_cbranch_scc0 .LBB15_22
; %bb.4:
	v_cvt_f32_u32_e32 v1, s9
	v_cvt_f32_ubyte0_e32 v2, 0
	s_sub_u32 s10, 0, s9
	s_subb_u32 s11, 0, 0
	v_madmk_f32 v1, v2, 0x4f800000, v1
	v_rcp_f32_e32 v1, v1
	v_mul_f32_e32 v1, 0x5f7ffffc, v1
	v_mul_f32_e32 v2, 0x2f800000, v1
	v_trunc_f32_e32 v2, v2
	v_madmk_f32 v1, v2, 0xcf800000, v1
	v_cvt_u32_f32_e32 v2, v2
	v_cvt_u32_f32_e32 v1, v1
	s_waitcnt lgkmcnt(0)
	v_readfirstlane_b32 s19, v2
	v_readfirstlane_b32 s21, v1
	s_mul_i32 s22, s10, s19
	s_mul_hi_u32 s24, s10, s21
	s_mul_i32 s23, s11, s21
	s_add_i32 s22, s24, s22
	s_add_i32 s22, s22, s23
	s_mul_i32 s25, s10, s21
	s_mul_hi_u32 s23, s21, s22
	s_mul_i32 s24, s21, s22
	s_mul_hi_u32 s21, s21, s25
	s_add_u32 s21, s21, s24
	s_addc_u32 s23, 0, s23
	s_mul_hi_u32 s26, s19, s25
	s_mul_i32 s25, s19, s25
	s_add_u32 s21, s21, s25
	s_mul_hi_u32 s24, s19, s22
	s_addc_u32 s21, s23, s26
	s_addc_u32 s23, s24, 0
	s_mul_i32 s22, s19, s22
	s_add_u32 s21, s21, s22
	s_addc_u32 s22, 0, s23
	v_add_co_u32_e32 v1, vcc, s21, v1
	s_cmp_lg_u64 vcc, 0
	s_addc_u32 s19, s19, s22
	v_readfirstlane_b32 s22, v1
	s_mul_i32 s21, s10, s19
	s_mul_hi_u32 s23, s10, s22
	s_add_i32 s21, s23, s21
	s_mul_i32 s11, s11, s22
	s_add_i32 s21, s21, s11
	s_mul_i32 s10, s10, s22
	s_mul_hi_u32 s23, s19, s10
	s_mul_i32 s24, s19, s10
	s_mul_i32 s26, s22, s21
	s_mul_hi_u32 s10, s22, s10
	s_mul_hi_u32 s25, s22, s21
	s_add_u32 s10, s10, s26
	s_addc_u32 s22, 0, s25
	s_add_u32 s10, s10, s24
	s_mul_hi_u32 s11, s19, s21
	s_addc_u32 s10, s22, s23
	s_addc_u32 s11, s11, 0
	s_mul_i32 s21, s19, s21
	s_add_u32 s10, s10, s21
	s_addc_u32 s11, 0, s11
	v_add_co_u32_e32 v1, vcc, s10, v1
	s_cmp_lg_u64 vcc, 0
	s_addc_u32 s19, s19, s11
	s_ashr_i32 s10, s3, 31
	s_add_u32 s22, s2, s10
	s_mov_b32 s11, s10
	s_addc_u32 s23, s3, s10
	s_xor_b64 s[22:23], s[22:23], s[10:11]
	v_readfirstlane_b32 s21, v1
	s_mul_i32 s11, s22, s19
	s_mul_hi_u32 s24, s22, s21
	s_mul_hi_u32 s3, s22, s19
	s_add_u32 s11, s24, s11
	s_addc_u32 s3, 0, s3
	s_mul_hi_u32 s25, s23, s21
	s_mul_i32 s21, s23, s21
	s_add_u32 s11, s11, s21
	s_mul_hi_u32 s24, s23, s19
	s_addc_u32 s3, s3, s25
	s_addc_u32 s11, s24, 0
	s_mul_i32 s19, s23, s19
	s_add_u32 s3, s3, s19
	s_addc_u32 s11, 0, s11
	s_mul_i32 s11, s9, s11
	s_mul_hi_u32 s24, s9, s3
	s_add_i32 s24, s24, s11
	s_mul_i32 s11, s9, s3
	v_mov_b32_e32 v1, s11
	s_add_u32 s19, s3, 1
	s_add_u32 s21, s3, 2
	v_sub_co_u32_e32 v1, vcc, s22, v1
	s_cmp_lg_u64 vcc, 0
	s_subb_u32 s11, s23, s24
	v_subrev_co_u32_e32 v2, vcc, s9, v1
	s_cmp_lg_u64 vcc, 0
	s_subb_u32 s22, s11, 0
	v_cmp_le_u32_e32 vcc, s9, v2
	s_cmp_eq_u32 s22, 0
	v_cndmask_b32_e64 v2, 0, -1, vcc
	s_cselect_b64 vcc, -1, 0
	v_cndmask_b32_e32 v2, -1, v2, vcc
	v_mov_b32_e32 v3, s19
	v_mov_b32_e32 v4, s21
	v_cmp_ne_u32_e32 vcc, 0, v2
	v_cndmask_b32_e32 v2, v3, v4, vcc
	v_cmp_le_u32_e32 vcc, s9, v1
	s_cmp_eq_u32 s11, 0
	v_cndmask_b32_e64 v1, 0, -1, vcc
	s_cselect_b64 vcc, -1, 0
	v_cndmask_b32_e32 v1, -1, v1, vcc
	v_mov_b32_e32 v3, s3
	v_cmp_ne_u32_e32 vcc, 0, v1
	v_cndmask_b32_e32 v1, v3, v2, vcc
	v_xor_b32_e32 v1, s10, v1
	v_subrev_co_u32_e32 v2, vcc, s10, v1
	s_cbranch_execnz .LBB15_6
.LBB15_5:
	v_cvt_f32_u32_e32 v1, s9
	s_sub_i32 s0, 0, s9
	s_mov_b32 s1, 0
	v_rcp_iflag_f32_e32 v1, v1
	v_mul_f32_e32 v1, 0x4f7ffffe, v1
	v_cvt_u32_f32_e32 v1, v1
	v_readfirstlane_b32 s3, v1
	s_mul_i32 s0, s0, s3
	s_mul_hi_u32 s0, s3, s0
	s_add_i32 s3, s3, s0
	s_mul_hi_u32 s0, s2, s3
	s_mul_i32 s10, s0, s9
	s_sub_i32 s2, s2, s10
	s_add_i32 s3, s0, 1
	s_sub_i32 s10, s2, s9
	s_cmp_ge_u32 s2, s9
	s_cselect_b32 s0, s3, s0
	s_cselect_b32 s2, s10, s2
	s_add_i32 s3, s0, 1
	s_cmp_ge_u32 s2, s9
	s_cselect_b32 s0, s3, s0
	v_pk_mov_b32 v[2:3], s[0:1], s[0:1] op_sel:[0,1]
.LBB15_6:
	s_waitcnt lgkmcnt(0)
	s_mul_hi_u32 s0, s20, s16
	s_add_i32 s0, s0, s20
	v_mul_hi_u32 v1, v2, s16
	s_lshr_b32 s19, s0, s17
	v_add_u32_e32 v1, v1, v2
	s_mul_i32 s0, s19, s18
	v_lshrrev_b32_e32 v1, s17, v1
	s_cmp_eq_u32 s0, s20
	v_cmp_eq_u32_e64 s[0:1], s19, v1
	v_mul_lo_u32 v1, v1, s18
	v_cmp_eq_u32_e32 vcc, s20, v2
	s_cselect_b64 s[10:11], -1, 0
	v_cmp_ne_u32_e64 s[2:3], v1, v2
	s_and_b64 s[0:1], s[0:1], s[2:3]
	s_or_b64 s[2:3], vcc, s[10:11]
	s_or_b64 s[0:1], s[2:3], s[0:1]
	s_and_b64 vcc, exec, s[0:1]
	s_cbranch_vccnz .LBB15_24
; %bb.7:
	s_load_dwordx8 s[24:31], s[4:5], 0x20
	s_load_dword s0, s[4:5], 0x40
	s_mov_b32 s10, 0
	s_waitcnt lgkmcnt(0)
	s_mul_hi_u32 s1, s20, s24
	s_add_i32 s1, s1, s20
	s_lshr_b32 s11, s1, s25
	s_mul_i32 s1, s11, s26
	s_sub_i32 s1, s20, s1
	s_mul_hi_u32 s2, s1, s27
	s_add_i32 s2, s1, s2
	s_lshr_b32 s24, s2, s28
	s_mul_i32 s2, s24, s29
	s_sub_i32 s1, s1, s2
	;; [unrolled: 5-line block ×3, first 2 shown]
	s_mul_hi_u32 s1, s0, s16
	s_add_i32 s0, s0, s1
	s_lshr_b32 s26, s0, s17
	s_lshl_b32 s0, s26, 1
	s_lshl_b32 s25, s2, 3
	s_add_i32 s0, s0, s7
	s_cmp_lt_i32 s0, s12
	s_cselect_b64 s[0:1], -1, 0
	s_add_i32 s2, s25, s8
	s_cmp_lt_i32 s2, s14
	s_cselect_b64 s[2:3], -1, 0
	s_and_b64 s[0:1], s[0:1], s[2:3]
	s_andn2_b64 vcc, exec, s[0:1]
	s_cbranch_vccnz .LBB15_24
; %bb.8:
	s_load_dwordx4 s[0:3], s[4:5], 0x0
	s_lshl_b32 s21, s7, 3
	s_lshl_b32 s4, s9, 6
	s_mov_b32 s5, s10
	s_add_i32 s21, s21, s8
	s_lshl_b64 s[4:5], s[4:5], 2
	s_waitcnt lgkmcnt(0)
	s_add_u32 s22, s2, s4
	s_mul_i32 s4, s11, s12
	s_addc_u32 s23, s3, s5
	s_add_i32 s4, s4, s7
	s_mul_i32 s4, s4, s13
	s_mul_i32 s24, s24, s14
	s_add_i32 s4, s4, s8
	s_add_i32 s4, s4, s24
	s_mul_i32 s5, s13, s26
	s_add_i32 s4, s4, s25
	s_lshl_b32 s5, s5, 8
	s_lshl_b32 s4, s4, 7
	s_add_i32 s5, s5, s4
	v_or_b32_e32 v2, s5, v0
	v_ashrrev_i32_e32 v3, 31, v2
	v_lshlrev_b64 v[2:3], 2, v[2:3]
	v_mov_b32_e32 v1, s1
	v_add_co_u32_e32 v2, vcc, s0, v2
	v_addc_co_u32_e32 v3, vcc, v1, v3, vcc
	global_load_dword v5, v[2:3], off
	v_lshl_or_b32 v4, s21, 7, v0
	v_cvt_f32_u32_e32 v0, s9
	v_cvt_f32_ubyte0_e32 v1, 0
	s_lshl_b32 s0, s6, 4
	s_add_i32 s0, s21, s0
	v_mac_f32_e32 v0, 0x4f800000, v1
	v_rcp_f32_e32 v0, v0
	v_cvt_f32_u32_e32 v1, s9
	s_ashr_i32 s1, s0, 31
	s_lshl_b64 s[0:1], s[0:1], 3
	v_mul_f32_e32 v0, 0x5f7ffffc, v0
	v_rcp_iflag_f32_e32 v1, v1
	s_add_u32 s0, s2, s0
	v_mul_f32_e32 v9, 0x2f800000, v0
	s_addc_u32 s1, s3, s1
	v_trunc_f32_e32 v10, v9
	s_load_dwordx2 s[0:1], s[0:1], 0x0
	v_mac_f32_e32 v0, 0xcf800000, v10
	v_cvt_u32_f32_e32 v9, v0
	v_mul_f32_e32 v0, 0x4f7ffffe, v1
	v_cvt_u32_f32_e32 v10, v10
	v_cvt_u32_f32_e32 v11, v0
	s_add_i32 s8, s6, -1
	s_waitcnt lgkmcnt(0)
	v_mov_b32_e32 v6, s1
	v_mov_b32_e32 v7, s0
	;; [unrolled: 1-line block ×3, first 2 shown]
	s_mov_b32 s6, 0x3fb8aa3b
	s_mov_b32 s7, 0xc2ce8ed0
	;; [unrolled: 1-line block ×4, first 2 shown]
	v_mov_b32_e32 v12, 0x7f800000
	s_mul_hi_i32 s11, s8, s15
	s_cmp_lg_u64 s[10:11], 0
	s_mul_i32 s4, s8, s15
	s_cbranch_scc0 .LBB15_15
.LBB15_9:
	s_sub_u32 s0, 0, s9
	v_readfirstlane_b32 s5, v9
	v_readfirstlane_b32 s24, v10
	s_subb_u32 s1, 0, 0
	s_mul_hi_u32 s20, s0, s5
	s_mul_i32 s25, s0, s24
	s_mul_i32 s14, s1, s5
	s_add_i32 s20, s20, s25
	s_add_i32 s20, s20, s14
	s_mul_i32 s26, s0, s5
	s_mul_hi_u32 s14, s5, s20
	s_mul_i32 s25, s5, s20
	s_mul_hi_u32 s5, s5, s26
	s_add_u32 s5, s5, s25
	s_addc_u32 s14, 0, s14
	s_mul_hi_u32 s27, s24, s26
	s_mul_i32 s26, s24, s26
	s_add_u32 s5, s5, s26
	s_mul_hi_u32 s25, s24, s20
	s_addc_u32 s5, s14, s27
	s_addc_u32 s14, s25, 0
	s_mul_i32 s20, s24, s20
	s_add_u32 s5, s5, s20
	s_addc_u32 s14, 0, s14
	v_add_co_u32_e32 v0, vcc, s5, v9
	s_cmp_lg_u64 vcc, 0
	s_addc_u32 s5, s24, s14
	v_readfirstlane_b32 s20, v0
	s_mul_i32 s14, s0, s5
	s_mul_hi_u32 s24, s0, s20
	s_add_i32 s14, s24, s14
	s_mul_i32 s1, s1, s20
	s_add_i32 s14, s14, s1
	s_mul_i32 s0, s0, s20
	s_mul_hi_u32 s24, s5, s0
	s_mul_i32 s25, s5, s0
	s_mul_i32 s27, s20, s14
	s_mul_hi_u32 s0, s20, s0
	s_mul_hi_u32 s26, s20, s14
	s_add_u32 s0, s0, s27
	s_addc_u32 s20, 0, s26
	s_add_u32 s0, s0, s25
	s_mul_hi_u32 s1, s5, s14
	s_addc_u32 s0, s20, s24
	s_addc_u32 s1, s1, 0
	s_mul_i32 s14, s5, s14
	s_add_u32 s0, s0, s14
	s_addc_u32 s1, 0, s1
	v_add_co_u32_e32 v0, vcc, s0, v0
	s_cmp_lg_u64 vcc, 0
	s_addc_u32 s5, s5, s1
	s_ashr_i32 s0, s11, 31
	s_add_u32 s24, s4, s0
	s_mov_b32 s1, s0
	s_addc_u32 s25, s11, s0
	s_xor_b64 s[24:25], s[24:25], s[0:1]
	v_readfirstlane_b32 s14, v0
	s_mul_i32 s11, s24, s5
	s_mul_hi_u32 s20, s24, s14
	s_mul_hi_u32 s1, s24, s5
	s_add_u32 s11, s20, s11
	s_addc_u32 s1, 0, s1
	s_mul_hi_u32 s26, s25, s14
	s_mul_i32 s14, s25, s14
	s_add_u32 s11, s11, s14
	s_mul_hi_u32 s20, s25, s5
	s_addc_u32 s1, s1, s26
	s_addc_u32 s11, s20, 0
	s_mul_i32 s5, s25, s5
	s_add_u32 s1, s1, s5
	s_addc_u32 s5, 0, s11
	s_mul_i32 s5, s9, s5
	s_mul_hi_u32 s20, s9, s1
	s_add_i32 s20, s20, s5
	s_mul_i32 s5, s9, s1
	v_mov_b32_e32 v0, s5
	s_add_u32 s11, s1, 1
	s_add_u32 s14, s1, 2
	v_sub_co_u32_e32 v0, vcc, s24, v0
	s_cmp_lg_u64 vcc, 0
	s_subb_u32 s5, s25, s20
	v_subrev_co_u32_e32 v1, vcc, s9, v0
	s_cmp_lg_u64 vcc, 0
	s_subb_u32 s20, s5, 0
	v_cmp_le_u32_e32 vcc, s9, v1
	s_cmp_eq_u32 s20, 0
	v_cndmask_b32_e64 v1, 0, -1, vcc
	s_cselect_b64 vcc, -1, 0
	v_cndmask_b32_e32 v1, -1, v1, vcc
	v_mov_b32_e32 v13, s11
	v_mov_b32_e32 v14, s14
	v_cmp_ne_u32_e32 vcc, 0, v1
	v_cndmask_b32_e32 v1, v13, v14, vcc
	v_cmp_le_u32_e32 vcc, s9, v0
	s_cmp_eq_u32 s5, 0
	v_cndmask_b32_e64 v0, 0, -1, vcc
	s_cselect_b64 vcc, -1, 0
	v_cndmask_b32_e32 v0, -1, v0, vcc
	v_mov_b32_e32 v13, s1
	v_cmp_ne_u32_e32 vcc, 0, v0
	v_cndmask_b32_e32 v0, v13, v1, vcc
	v_xor_b32_e32 v0, s0, v0
	v_subrev_co_u32_e32 v0, vcc, s0, v0
	s_cbranch_execnz .LBB15_11
.LBB15_10:
	s_sub_i32 s0, 0, s9
	v_mul_lo_u32 v0, s0, v11
	v_mul_hi_u32 v0, v11, v0
	v_add_u32_e32 v0, v11, v0
	v_mul_hi_u32 v0, s4, v0
	v_mul_lo_u32 v13, v0, s9
	v_sub_u32_e32 v13, s4, v13
	v_add_u32_e32 v1, 1, v0
	v_subrev_u32_e32 v14, s9, v13
	v_cmp_le_u32_e32 vcc, s9, v13
	v_cndmask_b32_e32 v13, v13, v14, vcc
	v_cndmask_b32_e32 v0, v0, v1, vcc
	v_add_u32_e32 v1, 1, v0
	v_cmp_le_u32_e32 vcc, s9, v13
	v_cndmask_b32_e32 v0, v0, v1, vcc
.LBB15_11:
	v_cmp_ne_u32_e32 vcc, v8, v0
	s_cbranch_vccz .LBB15_14
; %bb.12:
	s_add_i32 s0, s8, s9
	s_lshl_b32 s0, s0, 4
	v_mul_hi_u32 v1, v0, s16
	s_add_i32 s0, s0, s21
	s_mov_b32 s1, s10
	v_add_u32_e32 v1, v1, v0
	s_lshl_b64 s[0:1], s[0:1], 3
	v_lshrrev_b32_e32 v1, s17, v1
	s_add_u32 s4, s2, s0
	v_mul_lo_u32 v13, v1, s18
	s_addc_u32 s5, s3, s1
	v_cmp_eq_u32_e32 vcc, v13, v0
	v_cmp_gt_u32_e64 s[0:1], s19, v1
	s_or_b64 s[0:1], s[0:1], vcc
	s_and_b64 vcc, exec, s[0:1]
	s_cbranch_vccnz .LBB15_16
; %bb.13:
	s_add_i32 s11, s8, -1
	s_mov_b64 s[0:1], 0
	s_branch .LBB15_17
.LBB15_14:
                                        ; implicit-def: $sgpr0_sgpr1
                                        ; implicit-def: $vgpr14
                                        ; implicit-def: $vgpr1
                                        ; implicit-def: $vgpr13
                                        ; implicit-def: $sgpr11
                                        ; implicit-def: $vgpr0
	s_branch .LBB15_18
.LBB15_15:
                                        ; implicit-def: $vgpr0_vgpr1
	s_branch .LBB15_10
.LBB15_16:
	s_mov_b64 s[0:1], -1
	s_mov_b32 s11, s8
	v_mov_b32_e32 v0, v8
.LBB15_17:
	v_lshl_add_u32 v14, s8, 11, v4
	v_ashrrev_i32_e32 v15, 31, v14
	v_lshlrev_b64 v[14:15], 2, v[14:15]
	v_mov_b32_e32 v1, s23
	v_add_co_u32_e32 v14, vcc, s22, v14
	v_addc_co_u32_e32 v15, vcc, v1, v15, vcc
	global_load_dword v14, v[14:15], off
	s_load_dwordx2 s[4:5], s[4:5], 0x0
	v_max_f32_e32 v1, v7, v7
	s_waitcnt lgkmcnt(0)
	v_max_f32_e64 v13, s4, s4
	v_max_f32_e32 v1, v1, v13
	v_sub_f32_e32 v13, v7, v1
	v_sub_f32_e32 v15, s4, v1
	v_mul_f32_e32 v16, 0x3fb8aa3b, v13
	v_mul_f32_e32 v17, 0x3fb8aa3b, v15
	v_fma_f32 v18, v13, s6, -v16
	v_rndne_f32_e32 v19, v16
	v_fma_f32 v20, v15, s6, -v17
	v_rndne_f32_e32 v21, v17
	v_fmac_f32_e32 v18, 0x32a5705f, v13
	v_sub_f32_e32 v16, v16, v19
	v_fmac_f32_e32 v20, 0x32a5705f, v15
	v_sub_f32_e32 v17, v17, v21
	v_add_f32_e32 v16, v16, v18
	v_cvt_i32_f32_e32 v19, v19
	v_add_f32_e32 v17, v17, v20
	v_exp_f32_e32 v16, v16
	v_cvt_i32_f32_e32 v21, v21
	v_exp_f32_e32 v17, v17
	v_cmp_ngt_f32_e32 vcc, s7, v13
	v_ldexp_f32 v16, v16, v19
	v_cndmask_b32_e32 v16, 0, v16, vcc
	v_ldexp_f32 v17, v17, v21
	v_cmp_ngt_f32_e32 vcc, s7, v15
	v_cndmask_b32_e32 v17, 0, v17, vcc
	v_cmp_nlt_f32_e32 vcc, s12, v13
	v_cndmask_b32_e32 v16, v12, v16, vcc
	v_cmp_nlt_f32_e32 vcc, s12, v15
	v_cndmask_b32_e32 v17, v12, v17, vcc
	v_cmp_le_f32_e32 vcc, s13, v13
	v_cndmask_b32_e32 v16, 0, v16, vcc
	v_cmp_le_f32_e32 vcc, s13, v15
	v_cndmask_b32_e32 v15, 0, v17, vcc
	v_mul_f32_e32 v13, s5, v15
	v_fmac_f32_e32 v13, v6, v16
	s_waitcnt vmcnt(0)
	v_mul_f32_e32 v14, v14, v15
	v_fmac_f32_e32 v14, v5, v16
	s_cbranch_execnz .LBB15_19
.LBB15_18:
	s_add_i32 s11, s8, -1
	s_mov_b64 s[0:1], 0
	v_mov_b32_e32 v0, v8
	v_mov_b32_e32 v13, v6
	;; [unrolled: 1-line block ×3, first 2 shown]
	s_waitcnt vmcnt(0)
	v_mov_b32_e32 v14, v5
.LBB15_19:
	s_andn2_b64 vcc, exec, s[0:1]
	s_cbranch_vccz .LBB15_23
; %bb.20:
	v_mov_b32_e32 v8, v0
	s_mov_b32 s8, s11
	v_mov_b32_e32 v6, v13
	v_mov_b32_e32 v7, v1
	s_waitcnt vmcnt(0)
	v_mov_b32_e32 v5, v14
	s_mul_hi_i32 s11, s8, s15
	s_cmp_lg_u64 s[10:11], 0
	s_mul_i32 s4, s8, s15
	s_cbranch_scc1 .LBB15_9
	s_branch .LBB15_15
.LBB15_21:
                                        ; implicit-def: $sgpr20_sgpr21
	s_load_dwordx4 s[16:19], s[4:5], 0x44
	s_branch .LBB15_2
.LBB15_22:
                                        ; implicit-def: $vgpr2_vgpr3
	s_branch .LBB15_5
.LBB15_23:
	v_div_scale_f32 v0, s[0:1], v13, v13, v14
	v_rcp_f32_e32 v1, v0
	v_div_scale_f32 v4, vcc, v14, v13, v14
	s_waitcnt vmcnt(0)
	v_fma_f32 v5, -v0, v1, 1.0
	v_fmac_f32_e32 v1, v5, v1
	v_mul_f32_e32 v5, v4, v1
	v_fma_f32 v6, -v0, v5, v4
	v_fmac_f32_e32 v5, v6, v1
	v_fma_f32 v0, -v0, v5, v4
	v_div_fmas_f32 v0, v0, v1, v5
	v_div_fixup_f32 v0, v0, v13, v14
	global_store_dword v[2:3], v0, off
.LBB15_24:
	s_endpgm
	.section	.rodata,"a",@progbits
	.p2align	6, 0x0
	.amdhsa_kernel _ZL33flash_attn_stream_k_fixup_generalILi128ELi2ELi8EEvPfPK15HIP_vector_typeIfLj2EEiiiiS1_IjLj3EES5_S5_S5_
		.amdhsa_group_segment_fixed_size 0
		.amdhsa_private_segment_fixed_size 0
		.amdhsa_kernarg_size 336
		.amdhsa_user_sgpr_count 6
		.amdhsa_user_sgpr_private_segment_buffer 1
		.amdhsa_user_sgpr_dispatch_ptr 0
		.amdhsa_user_sgpr_queue_ptr 0
		.amdhsa_user_sgpr_kernarg_segment_ptr 1
		.amdhsa_user_sgpr_dispatch_id 0
		.amdhsa_user_sgpr_flat_scratch_init 0
		.amdhsa_user_sgpr_kernarg_preload_length 0
		.amdhsa_user_sgpr_kernarg_preload_offset 0
		.amdhsa_user_sgpr_private_segment_size 0
		.amdhsa_uses_dynamic_stack 0
		.amdhsa_system_sgpr_private_segment_wavefront_offset 0
		.amdhsa_system_sgpr_workgroup_id_x 1
		.amdhsa_system_sgpr_workgroup_id_y 1
		.amdhsa_system_sgpr_workgroup_id_z 1
		.amdhsa_system_sgpr_workgroup_info 0
		.amdhsa_system_vgpr_workitem_id 0
		.amdhsa_next_free_vgpr 22
		.amdhsa_next_free_sgpr 32
		.amdhsa_accum_offset 24
		.amdhsa_reserve_vcc 1
		.amdhsa_reserve_flat_scratch 0
		.amdhsa_float_round_mode_32 0
		.amdhsa_float_round_mode_16_64 0
		.amdhsa_float_denorm_mode_32 3
		.amdhsa_float_denorm_mode_16_64 3
		.amdhsa_dx10_clamp 1
		.amdhsa_ieee_mode 1
		.amdhsa_fp16_overflow 0
		.amdhsa_tg_split 0
		.amdhsa_exception_fp_ieee_invalid_op 0
		.amdhsa_exception_fp_denorm_src 0
		.amdhsa_exception_fp_ieee_div_zero 0
		.amdhsa_exception_fp_ieee_overflow 0
		.amdhsa_exception_fp_ieee_underflow 0
		.amdhsa_exception_fp_ieee_inexact 0
		.amdhsa_exception_int_div_zero 0
	.end_amdhsa_kernel
	.section	.text._ZL33flash_attn_stream_k_fixup_generalILi128ELi2ELi8EEvPfPK15HIP_vector_typeIfLj2EEiiiiS1_IjLj3EES5_S5_S5_,"axG",@progbits,_ZL33flash_attn_stream_k_fixup_generalILi128ELi2ELi8EEvPfPK15HIP_vector_typeIfLj2EEiiiiS1_IjLj3EES5_S5_S5_,comdat
.Lfunc_end15:
	.size	_ZL33flash_attn_stream_k_fixup_generalILi128ELi2ELi8EEvPfPK15HIP_vector_typeIfLj2EEiiiiS1_IjLj3EES5_S5_S5_, .Lfunc_end15-_ZL33flash_attn_stream_k_fixup_generalILi128ELi2ELi8EEvPfPK15HIP_vector_typeIfLj2EEiiiiS1_IjLj3EES5_S5_S5_
                                        ; -- End function
	.section	.AMDGPU.csdata,"",@progbits
; Kernel info:
; codeLenInByte = 2824
; NumSgprs: 36
; NumVgprs: 22
; NumAgprs: 0
; TotalNumVgprs: 22
; ScratchSize: 0
; MemoryBound: 0
; FloatMode: 240
; IeeeMode: 1
; LDSByteSize: 0 bytes/workgroup (compile time only)
; SGPRBlocks: 4
; VGPRBlocks: 2
; NumSGPRsForWavesPerEU: 36
; NumVGPRsForWavesPerEU: 22
; AccumOffset: 24
; Occupancy: 8
; WaveLimiterHint : 0
; COMPUTE_PGM_RSRC2:SCRATCH_EN: 0
; COMPUTE_PGM_RSRC2:USER_SGPR: 6
; COMPUTE_PGM_RSRC2:TRAP_HANDLER: 0
; COMPUTE_PGM_RSRC2:TGID_X_EN: 1
; COMPUTE_PGM_RSRC2:TGID_Y_EN: 1
; COMPUTE_PGM_RSRC2:TGID_Z_EN: 1
; COMPUTE_PGM_RSRC2:TIDIG_COMP_CNT: 0
; COMPUTE_PGM_RSRC3_GFX90A:ACCUM_OFFSET: 5
; COMPUTE_PGM_RSRC3_GFX90A:TG_SPLIT: 0
	.section	.text._ZL15flash_attn_tileILi192ELi128ELi1ELi8ELb0EEvPKcS1_S1_S1_S1_PKiPfP15HIP_vector_typeIfLj2EEffffjfiS5_IjLj3EEiiiiiiiiiiiliiliiiiil,"axG",@progbits,_ZL15flash_attn_tileILi192ELi128ELi1ELi8ELb0EEvPKcS1_S1_S1_S1_PKiPfP15HIP_vector_typeIfLj2EEffffjfiS5_IjLj3EEiiiiiiiiiiiliiliiiiil,comdat
	.globl	_ZL15flash_attn_tileILi192ELi128ELi1ELi8ELb0EEvPKcS1_S1_S1_S1_PKiPfP15HIP_vector_typeIfLj2EEffffjfiS5_IjLj3EEiiiiiiiiiiiliiliiiiil ; -- Begin function _ZL15flash_attn_tileILi192ELi128ELi1ELi8ELb0EEvPKcS1_S1_S1_S1_PKiPfP15HIP_vector_typeIfLj2EEffffjfiS5_IjLj3EEiiiiiiiiiiiliiliiiiil
	.p2align	8
	.type	_ZL15flash_attn_tileILi192ELi128ELi1ELi8ELb0EEvPKcS1_S1_S1_S1_PKiPfP15HIP_vector_typeIfLj2EEffffjfiS5_IjLj3EEiiiiiiiiiiiliiliiiiil,@function
_ZL15flash_attn_tileILi192ELi128ELi1ELi8ELb0EEvPKcS1_S1_S1_S1_PKiPfP15HIP_vector_typeIfLj2EEffffjfiS5_IjLj3EEiiiiiiiiiiiliiliiiiil: ; @_ZL15flash_attn_tileILi192ELi128ELi1ELi8ELb0EEvPKcS1_S1_S1_S1_PKiPfP15HIP_vector_typeIfLj2EEffffjfiS5_IjLj3EEiiiiiiiiiiiliiliiiiil
; %bb.0:
	s_load_dwordx4 s[24:27], s[4:5], 0x5c
	s_load_dwordx2 s[28:29], s[4:5], 0x80
	s_mov_b64 s[30:31], 0
	s_waitcnt lgkmcnt(0)
	s_ashr_i32 s0, s27, 31
	s_lshr_b32 s0, s0, 29
	s_add_i32 s0, s27, s0
	s_ashr_i32 s0, s0, 3
	v_cvt_f32_u32_e32 v1, s0
	s_sub_i32 s1, 0, s0
	v_rcp_iflag_f32_e32 v1, v1
	v_mul_f32_e32 v1, 0x4f7ffffe, v1
	v_cvt_u32_f32_e32 v1, v1
	v_readfirstlane_b32 s2, v1
	s_mul_i32 s1, s1, s2
	s_mul_hi_u32 s1, s2, s1
	s_add_i32 s2, s2, s1
	s_mul_hi_u32 s1, s8, s2
	s_mul_i32 s2, s1, s0
	s_sub_i32 s2, s8, s2
	s_add_i32 s3, s1, 1
	s_sub_i32 s9, s2, s0
	s_cmp_ge_u32 s2, s0
	s_cselect_b32 s1, s3, s1
	s_cselect_b32 s2, s9, s2
	s_add_i32 s3, s1, 1
	s_cmp_ge_u32 s2, s0
	s_cselect_b32 s33, s3, s1
	s_abs_i32 s0, s29
	v_cvt_f32_u32_e32 v1, s0
	s_lshl_b32 s1, s8, 3
	s_mul_i32 s8, s33, s27
	s_xor_b32 s2, s27, s29
	v_rcp_iflag_f32_e32 v1, v1
	s_sub_i32 s9, 0, s0
	s_sub_i32 s29, s1, s8
	s_abs_i32 s3, s27
	v_mul_f32_e32 v1, 0x4f7ffffe, v1
	v_cvt_u32_f32_e32 v1, v1
	s_ashr_i32 s2, s2, 31
	v_readfirstlane_b32 s1, v1
	s_mul_i32 s9, s9, s1
	s_mul_hi_u32 s8, s1, s9
	s_add_i32 s1, s1, s8
	s_mul_hi_u32 s1, s3, s1
	s_mul_i32 s8, s1, s0
	s_sub_i32 s3, s3, s8
	s_add_i32 s9, s1, 1
	s_sub_i32 s8, s3, s0
	s_cmp_ge_u32 s3, s0
	s_cselect_b32 s1, s9, s1
	s_cselect_b32 s3, s8, s3
	s_add_i32 s8, s1, 1
	s_cmp_ge_u32 s3, s0
	s_cselect_b32 s0, s8, s1
	s_xor_b32 s0, s0, s2
	s_sub_i32 s35, s0, s2
	s_abs_i32 s34, s35
	v_cvt_f32_u32_e32 v1, s34
	s_load_dwordx16 s[8:23], s[4:5], 0x0
	s_load_dwordx2 s[0:1], s[4:5], 0xb8
	v_rcp_iflag_f32_e32 v1, v1
	s_waitcnt lgkmcnt(0)
	s_cmp_eq_u64 s[14:15], 0
	v_mul_f32_e32 v1, 0x4f7ffffe, v1
	v_cvt_u32_f32_e32 v1, v1
	v_readfirstlane_b32 s36, v1
	s_cbranch_scc1 .LBB16_2
; %bb.1:
	s_abs_i32 s0, s0
	v_cvt_f32_u32_e32 v1, s0
	s_sub_i32 s37, 0, s0
	s_abs_i32 s31, s33
	s_ashr_i32 s30, s33, 31
	v_rcp_iflag_f32_e32 v1, v1
	s_load_dwordx2 s[2:3], s[4:5], 0xc8
	v_mul_f32_e32 v1, 0x4f7ffffe, v1
	v_cvt_u32_f32_e32 v1, v1
	v_readfirstlane_b32 s38, v1
	s_mul_i32 s37, s37, s38
	s_mul_hi_u32 s37, s38, s37
	s_add_i32 s38, s38, s37
	s_mul_hi_u32 s37, s31, s38
	s_mul_i32 s37, s37, s0
	s_sub_i32 s31, s31, s37
	s_sub_i32 s37, s31, s0
	s_cmp_ge_u32 s31, s0
	s_cselect_b32 s31, s37, s31
	s_sub_i32 s37, s31, s0
	s_cmp_ge_u32 s31, s0
	s_cselect_b32 s0, s37, s31
	s_xor_b32 s0, s0, s30
	s_sub_i32 s0, s0, s30
	s_ashr_i32 s30, s0, 31
	s_waitcnt lgkmcnt(0)
	s_mul_i32 s3, s0, s3
	s_mul_hi_u32 s31, s0, s2
	s_add_i32 s3, s31, s3
	s_mul_i32 s30, s30, s2
	s_add_i32 s3, s3, s30
	s_mul_i32 s0, s0, s2
	s_add_u32 s30, s14, s0
	s_addc_u32 s31, s15, s3
.LBB16_2:
	s_load_dwordx4 s[40:43], s[4:5], 0x70
	v_bfe_u32 v4, v0, 10, 10
	v_lshrrev_b32_e32 v1, 3, v4
	v_and_b32_e32 v26, 7, v4
	v_add_u32_e32 v1, s6, v1
	s_waitcnt lgkmcnt(0)
	s_mul_i32 s0, s33, s42
	s_ashr_i32 s3, s0, 31
	s_mul_i32 s2, s29, s41
	s_add_u32 s0, s8, s0
	s_addc_u32 s3, s9, s3
	s_ashr_i32 s8, s2, 31
	s_add_u32 s0, s0, s2
	s_addc_u32 s8, s3, s8
	s_ashr_i32 s9, s41, 31
	v_mov_b32_e32 v2, s41
	v_alignbit_b32 v2, s9, v2, 2
	v_mad_u64_u32 v[2:3], s[2:3], v2, v26, 0
	v_mul_hi_u32 v5, s24, v1
	v_mov_b32_e32 v6, v3
	s_lshr_b32 s2, s9, 2
	v_add_u32_e32 v5, v1, v5
	v_mad_u64_u32 v[6:7], s[2:3], s2, v26, v[6:7]
	v_lshrrev_b32_e32 v5, s25, v5
	v_mov_b32_e32 v3, v6
	v_mul_lo_u32 v5, v5, s26
	s_ashr_i32 s9, s40, 31
	v_mov_b32_e32 v6, s40
	v_sub_u32_e32 v5, v1, v5
	v_alignbit_b32 v6, s9, v6, 2
	v_mad_u64_u32 v[6:7], s[2:3], v6, v5, 0
	v_mov_b32_e32 v8, v7
	s_lshr_b32 s2, s9, 2
	v_mad_u64_u32 v[8:9], s[2:3], s2, v5, v[8:9]
	v_lshlrev_b64 v[2:3], 2, v[2:3]
	v_mov_b32_e32 v7, v8
	v_mov_b32_e32 v8, s8
	v_add_co_u32_e32 v9, vcc, s0, v2
	v_addc_co_u32_e32 v8, vcc, v8, v3, vcc
	v_lshlrev_b64 v[2:3], 2, v[6:7]
	v_and_b32_e32 v0, 0x3ff, v0
	v_add_co_u32_e32 v2, vcc, v9, v2
	v_addc_co_u32_e32 v3, vcc, v8, v3, vcc
	v_lshlrev_b32_e32 v6, 4, v0
	v_add_co_u32_e32 v2, vcc, v2, v6
	v_addc_co_u32_e32 v3, vcc, 0, v3, vcc
	global_load_dwordx4 v[6:9], v[2:3], off
	s_load_dword s2, s[4:5], 0x40
	v_mul_u32_u24_e32 v10, 0x60, v4
	v_cmp_gt_u32_e32 vcc, 16, v0
	s_waitcnt vmcnt(0) lgkmcnt(0)
	v_pk_mul_f32 v[6:7], v[6:7], s[2:3] op_sel_hi:[1,0]
	v_pk_mul_f32 v[8:9], v[8:9], s[2:3] op_sel_hi:[1,0]
	v_cvt_f16_f32_e32 v7, v7
	v_cvt_f16_f32_e32 v9, v9
	;; [unrolled: 1-line block ×4, first 2 shown]
	v_lshlrev_b32_e32 v6, 1, v0
	v_add_lshl_u32 v6, v6, v10, 2
	v_pack_b32_f16 v9, v8, v9
	v_pack_b32_f16 v8, v11, v7
	ds_write_b64 v6, v[8:9] offset:9216
	s_and_saveexec_b64 s[8:9], vcc
	s_cbranch_execz .LBB16_4
; %bb.3:
	global_load_dwordx4 v[8:11], v[2:3], off offset:512
	s_mov_b32 s3, s2
	v_add_u32_e32 v6, 0x2400, v6
	s_waitcnt vmcnt(0)
	v_pk_mul_f32 v[2:3], v[8:9], s[2:3]
	v_pk_mul_f32 v[8:9], v[10:11], s[2:3]
	v_cvt_f16_f32_e32 v3, v3
	v_cvt_f16_f32_e32 v2, v2
	;; [unrolled: 1-line block ×4, first 2 shown]
	v_pack_b32_f16 v2, v2, v3
	v_pack_b32_f16 v3, v8, v7
	ds_write_b64 v6, v[2:3] offset:256
.LBB16_4:
	s_or_b64 exec, exec, s[8:9]
	s_cmp_eq_u64 s[18:19], 0
	s_waitcnt lgkmcnt(0)
	s_barrier
	s_cbranch_scc1 .LBB16_6
; %bb.5:
	s_load_dword s0, s[4:5], 0xd0
	s_mov_b32 s3, 0
	s_waitcnt lgkmcnt(0)
	s_mul_i32 s0, s0, s33
	s_add_i32 s2, s0, s6
	s_lshl_b64 s[2:3], s[2:3], 2
	s_add_u32 s2, s18, s2
	s_addc_u32 s3, s19, s3
	s_load_dword s28, s[2:3], 0x0
.LBB16_6:
	s_lshl_b32 s6, s7, 6
	s_waitcnt lgkmcnt(0)
	s_cmp_lt_i32 s6, s28
	v_mbcnt_lo_u32_b32 v8, -1, 0
	s_cbranch_scc1 .LBB16_8
; %bb.7:
	v_mbcnt_hi_u32_b32 v3, -1, v8
	v_and_b32_e32 v2, 0x60, v3
	s_mov_b32 s0, 0
	v_add_u32_e32 v28, 32, v2
	v_xor_b32_e32 v33, 16, v3
	v_xor_b32_e32 v32, 8, v3
	;; [unrolled: 1-line block ×5, first 2 shown]
	s_mov_b64 s[2:3], 0
	s_mov_b32 s8, 0xfeffffff
	s_branch .LBB16_9
.LBB16_8:
	s_mov_b64 s[2:3], -1
                                        ; implicit-def: $sgpr8
                                        ; implicit-def: $sgpr0
                                        ; implicit-def: $vgpr3
                                        ; implicit-def: $vgpr28
                                        ; implicit-def: $vgpr33
                                        ; implicit-def: $vgpr32
                                        ; implicit-def: $vgpr31
                                        ; implicit-def: $vgpr30
                                        ; implicit-def: $vgpr29
.LBB16_9:
	v_lshlrev_b32_e32 v27, 2, v0
	s_andn2_b64 vcc, exec, s[2:3]
	v_mov_b32_e32 v12, s8
	v_mov_b32_e32 v14, s0
	;; [unrolled: 1-line block ×4, first 2 shown]
	s_cbranch_vccnz .LBB16_12
; %bb.10:
	s_sub_i32 s0, 0, s34
	s_mul_i32 s0, s0, s36
	s_mul_hi_u32 s0, s36, s0
	s_abs_i32 s14, s29
	s_add_i32 s36, s36, s0
	s_mul_hi_u32 s0, s14, s36
	s_load_dwordx2 s[2:3], s[4:5], 0x8c
	s_load_dwordx4 s[36:39], s[4:5], 0x98
	s_ashr_i32 s24, s35, 31
	s_ashr_i32 s15, s29, 31
	;; [unrolled: 1-line block ×3, first 2 shown]
	s_waitcnt lgkmcnt(0)
	s_ashr_i32 s18, s2, 2
	s_ashr_i32 s2, s33, 31
	s_mul_i32 s25, s33, s37
	s_mul_hi_u32 s35, s33, s36
	s_add_i32 s25, s35, s25
	s_mul_i32 s35, s2, s36
	s_ashr_i32 s19, s38, 2
	s_add_i32 s25, s25, s35
	s_mul_i32 s35, s33, s36
	s_add_u32 s10, s10, s35
	s_addc_u32 s11, s11, s25
	s_xor_b32 s15, s15, s24
	s_mul_i32 s24, s0, s34
	s_sub_i32 s14, s14, s24
	s_add_i32 s24, s0, 1
	s_sub_i32 s25, s14, s34
	s_cmp_ge_u32 s14, s34
	s_cselect_b32 s0, s24, s0
	s_cselect_b32 s14, s25, s14
	s_add_i32 s24, s0, 1
	s_cmp_ge_u32 s14, s34
	s_load_dwordx2 s[8:9], s[4:5], 0xa8
	s_cselect_b32 s0, s24, s0
	s_xor_b32 s0, s0, s15
	s_sub_i32 s0, s0, s15
	s_mul_i32 s3, s0, s3
	s_ashr_i32 s14, s3, 31
	s_add_u32 s24, s10, s3
	s_waitcnt lgkmcnt(0)
	s_mul_i32 s3, s33, s9
	s_mul_hi_u32 s9, s33, s8
	s_addc_u32 s25, s11, s14
	s_add_i32 s3, s9, s3
	s_mul_i32 s2, s2, s8
	s_add_i32 s3, s3, s2
	s_mul_i32 s2, s33, s8
	s_add_u32 s2, s12, s2
	s_mul_i32 s0, s0, s39
	s_addc_u32 s3, s13, s3
	s_ashr_i32 s8, s0, 31
	v_lshrrev_b32_e32 v2, 3, v0
	v_and_b32_e32 v6, 28, v27
	s_add_u32 s34, s2, s0
	v_lshl_add_u32 v2, v4, 2, v2
	v_lshlrev_b32_e32 v3, 2, v6
	s_movk_i32 s0, 0x90
	v_mad_u32_u24 v34, v2, s0, v3
	v_mul_lo_u32 v10, s18, v2
	s_movk_i32 s0, 0x180
	v_mov_b32_e32 v2, 0x2400
	v_mad_u32_u24 v36, v4, s0, v2
	v_mad_u64_u32 v[2:3], s[0:1], v5, s1, v[0:1]
	v_mov_b32_e32 v3, 0x3000
	v_lshl_add_u32 v38, v4, 7, v3
	v_lshrrev_b32_e32 v3, 4, v0
	v_lshl_add_u32 v3, v4, 1, v3
	v_and_b32_e32 v16, 60, v27
	v_lshlrev_b32_e32 v4, 2, v16
	v_mul_lo_u32 v18, s19, v3
	s_addc_u32 s35, s3, s8
	v_lshl_add_u32 v14, s18, 5, v10
	v_lshl_or_b32 v40, v3, 8, v4
	v_lshl_add_u32 v20, s19, 4, v18
	v_mbcnt_hi_u32_b32 v3, -1, v8
	v_ashrrev_i32_e32 v11, 31, v10
	v_ashrrev_i32_e32 v15, 31, v14
	;; [unrolled: 1-line block ×4, first 2 shown]
	v_lshlrev_b32_e32 v42, 3, v0
	s_add_u32 s14, s4, 0xd0
	v_and_b32_e32 v8, 0x60, v3
	v_mov_b32_e32 v44, 0
	v_add_u32_e32 v35, 0x1200, v34
	v_mul_u32_u24_e32 v37, 0x90, v0
	v_lshl_add_u32 v39, v0, 1, v38
	v_add_u32_e32 v41, 0x1000, v40
	s_addc_u32 s15, s5, 0
	v_mov_b32_e32 v12, 0xfeffffff
	v_lshlrev_b64 v[4:5], 2, v[10:11]
	v_lshlrev_b32_e32 v43, 2, v6
	v_lshlrev_b64 v[6:7], 2, v[14:15]
	v_mov_b32_e32 v45, s31
	v_add_u32_e32 v28, 32, v8
	v_xor_b32_e32 v33, 16, v3
	v_xor_b32_e32 v32, 8, v3
	;; [unrolled: 1-line block ×5, first 2 shown]
	s_mov_b32 s31, 0x3fb8aa3b
	s_mov_b32 s36, 0xc2ce8ed0
	s_mov_b32 s37, 0x42b17218
	v_mov_b32_e32 v46, 0x7f800000
	v_lshlrev_b64 v[8:9], 2, v[18:19]
	v_lshlrev_b32_e32 v47, 2, v16
	v_lshlrev_b64 v[10:11], 2, v[20:21]
	v_add_u32_e32 v48, 0x800, v42
	v_add_u32_e32 v49, 0x1000, v42
	;; [unrolled: 1-line block ×3, first 2 shown]
	v_mov_b32_e32 v51, 0
	v_mov_b32_e32 v14, 0
.LBB16_11:                              ; =>This Inner Loop Header: Depth=1
	s_mul_hi_i32 s13, s6, s18
	s_mul_i32 s12, s6, s18
	v_add_u32_e32 v16, s6, v2
	v_cmp_lt_i32_e32 vcc, v33, v28
	v_cmp_lt_i32_e64 s[0:1], v32, v28
	v_cmp_lt_i32_e64 s[2:3], v31, v28
	v_mov_b32_e32 v53, v14
	v_cndmask_b32_e32 v14, v3, v33, vcc
	v_cndmask_b32_e64 v15, v3, v32, s[0:1]
	s_lshl_b64 s[0:1], s[12:13], 2
	v_ashrrev_i32_e32 v17, 31, v16
	v_cmp_lt_i32_e64 s[8:9], v30, v28
	v_cndmask_b32_e64 v18, v3, v31, s[2:3]
	v_lshlrev_b32_e32 v58, 2, v14
	v_lshlrev_b32_e32 v57, 2, v15
	s_add_u32 s2, s24, s0
	v_lshlrev_b64 v[14:15], 1, v[16:17]
	v_cmp_lt_i32_e64 s[10:11], v29, v28
	v_cndmask_b32_e64 v19, v3, v30, s[8:9]
	s_addc_u32 s8, s25, s1
	v_add_co_u32_e32 v14, vcc, s30, v14
	v_cndmask_b32_e64 v20, v3, v29, s[10:11]
	v_lshlrev_b32_e32 v56, 2, v18
	v_add_co_u32_e64 v16, s[0:1], s2, v6
	v_add_co_u32_e64 v17, s[2:3], s2, v4
	v_addc_co_u32_e32 v15, vcc, v45, v15, vcc
	v_mov_b32_e32 v18, s8
	v_lshlrev_b32_e32 v55, 2, v19
	v_lshlrev_b32_e32 v54, 2, v20
	v_mov_b32_e32 v19, s8
	v_add_co_u32_e32 v20, vcc, v16, v43
	v_add_co_u32_e64 v72, s[8:9], v17, v43
	v_addc_co_u32_e64 v16, s[2:3], v18, v5, s[2:3]
	v_addc_co_u32_e64 v17, s[0:1], v19, v7, s[0:1]
	;; [unrolled: 1-line block ×3, first 2 shown]
	v_addc_co_u32_e32 v21, vcc, 0, v17, vcc
	global_load_dwordx4 v[60:63], v[72:73], off
	global_load_dwordx4 v[64:67], v[20:21], off
	v_mov_b32_e32 v52, v12
	v_mov_b32_e32 v12, 0
	;; [unrolled: 1-line block ×3, first 2 shown]
	s_mul_hi_i32 s39, s6, s19
	s_mul_i32 s38, s6, s19
	s_lshl_b64 s[10:11], s[38:39], 2
	s_add_u32 s10, s34, s10
	s_addc_u32 s11, s35, s11
	v_add_co_u32_e64 v18, s[0:1], s10, v8
	v_mov_b32_e32 v16, s11
	v_add_co_u32_e64 v19, s[2:3], s10, v10
	v_mov_b32_e32 v17, s11
	v_add_co_u32_e64 v24, s[8:9], v18, v47
	v_addc_co_u32_e64 v16, s[0:1], v16, v9, s[0:1]
	v_add_co_u32_e32 v22, vcc, v19, v47
	v_addc_co_u32_e64 v17, s[0:1], v17, v11, s[2:3]
	v_addc_co_u32_e64 v25, s[0:1], 0, v16, s[8:9]
	v_addc_co_u32_e32 v23, vcc, 0, v17, vcc
	s_or_b32 s12, s6, 32
	s_mul_hi_i32 s11, s12, s19
	s_mul_i32 s10, s12, s19
	s_lshl_b64 s[2:3], s[10:11], 2
	s_add_u32 s0, s34, s2
	s_addc_u32 s2, s35, s3
	v_add_co_u32_e32 v16, vcc, s0, v10
	v_add_co_u32_e64 v17, s[0:1], s0, v8
	v_mov_b32_e32 v19, s2
	v_mov_b32_e32 v59, s2
	v_add_co_u32_e64 v16, s[2:3], v16, v47
	s_waitcnt vmcnt(1)
	ds_write_b128 v34, v[60:63]
	s_waitcnt vmcnt(0)
	ds_write_b128 v35, v[64:67]
	s_waitcnt lgkmcnt(0)
	s_barrier
	ds_read_b128 v[60:63], v37
	ds_read_b128 v[64:67], v36
	ds_read_b128 v[68:71], v37 offset:4608
	s_waitcnt lgkmcnt(1)
	;;#ASMSTART
	v_dot2_f32_f16 v12, v60, v64, v12
	;;#ASMEND
	;;#ASMSTART
	v_dot2_f32_f16 v12, v61, v65, v12
	;;#ASMEND
	;;#ASMSTART
	v_dot2_f32_f16 v12, v62, v66, v12
	;;#ASMEND
	;;#ASMSTART
	v_dot2_f32_f16 v12, v63, v67, v12
	;;#ASMEND
	s_waitcnt lgkmcnt(0)
	;;#ASMSTART
	v_dot2_f32_f16 v13, v68, v64, v13
	;;#ASMEND
	;;#ASMSTART
	v_dot2_f32_f16 v13, v69, v65, v13
	;;#ASMEND
	;;#ASMSTART
	v_dot2_f32_f16 v13, v70, v66, v13
	;;#ASMEND
	;;#ASMSTART
	v_dot2_f32_f16 v13, v71, v67, v13
	;;#ASMEND
	ds_read_b128 v[60:63], v37 offset:16
	ds_read_b128 v[64:67], v36 offset:16
	ds_read_b128 v[68:71], v37 offset:4624
	s_waitcnt lgkmcnt(1)
	;;#ASMSTART
	v_dot2_f32_f16 v12, v60, v64, v12
	;;#ASMEND
	;;#ASMSTART
	v_dot2_f32_f16 v12, v61, v65, v12
	;;#ASMEND
	;;#ASMSTART
	v_dot2_f32_f16 v12, v62, v66, v12
	;;#ASMEND
	;;#ASMSTART
	v_dot2_f32_f16 v12, v63, v67, v12
	;;#ASMEND
	s_waitcnt lgkmcnt(0)
	;;#ASMSTART
	v_dot2_f32_f16 v13, v68, v64, v13
	;;#ASMEND
	;;#ASMSTART
	v_dot2_f32_f16 v13, v69, v65, v13
	;;#ASMEND
	;;#ASMSTART
	v_dot2_f32_f16 v13, v70, v66, v13
	;;#ASMEND
	;;#ASMSTART
	v_dot2_f32_f16 v13, v71, v67, v13
	;;#ASMEND
	ds_read_b128 v[60:63], v37 offset:32
	ds_read_b128 v[64:67], v36 offset:32
	;; [unrolled: 29-line block ×7, first 2 shown]
	ds_read_b128 v[68:71], v37 offset:4720
	s_waitcnt lgkmcnt(1)
	;;#ASMSTART
	v_dot2_f32_f16 v12, v60, v64, v12
	;;#ASMEND
	;;#ASMSTART
	v_dot2_f32_f16 v12, v61, v65, v12
	;;#ASMEND
	;; [unrolled: 3-line block ×4, first 2 shown]
	s_waitcnt lgkmcnt(0)
	;;#ASMSTART
	v_dot2_f32_f16 v13, v68, v64, v13
	;;#ASMEND
	;;#ASMSTART
	v_dot2_f32_f16 v13, v69, v65, v13
	;;#ASMEND
	;; [unrolled: 3-line block ×4, first 2 shown]
	s_barrier
	global_load_dwordx4 v[60:63], v[72:73], off offset:128
	global_load_dwordx4 v[64:67], v[20:21], off offset:128
	v_add_co_u32_e64 v18, s[8:9], v17, v47
	v_addc_co_u32_e64 v17, s[0:1], v19, v9, s[0:1]
	v_addc_co_u32_e32 v59, vcc, v59, v11, vcc
	v_addc_co_u32_e64 v19, vcc, 0, v17, s[8:9]
	v_addc_co_u32_e64 v17, vcc, 0, v59, s[2:3]
	s_waitcnt vmcnt(1)
	ds_write_b128 v34, v[60:63]
	s_waitcnt vmcnt(0)
	ds_write_b128 v35, v[64:67]
	s_waitcnt lgkmcnt(0)
	s_barrier
	ds_read_b128 v[60:63], v37
	ds_read_b128 v[64:67], v36 offset:128
	ds_read_b128 v[68:71], v37 offset:4608
	s_waitcnt lgkmcnt(1)
	;;#ASMSTART
	v_dot2_f32_f16 v12, v60, v64, v12
	;;#ASMEND
	;;#ASMSTART
	v_dot2_f32_f16 v12, v61, v65, v12
	;;#ASMEND
	;;#ASMSTART
	v_dot2_f32_f16 v12, v62, v66, v12
	;;#ASMEND
	;;#ASMSTART
	v_dot2_f32_f16 v12, v63, v67, v12
	;;#ASMEND
	s_waitcnt lgkmcnt(0)
	;;#ASMSTART
	v_dot2_f32_f16 v13, v68, v64, v13
	;;#ASMEND
	;;#ASMSTART
	v_dot2_f32_f16 v13, v69, v65, v13
	;;#ASMEND
	;;#ASMSTART
	v_dot2_f32_f16 v13, v70, v66, v13
	;;#ASMEND
	;;#ASMSTART
	v_dot2_f32_f16 v13, v71, v67, v13
	;;#ASMEND
	ds_read_b128 v[60:63], v37 offset:16
	ds_read_b128 v[64:67], v36 offset:144
	ds_read_b128 v[68:71], v37 offset:4624
	s_waitcnt lgkmcnt(1)
	;;#ASMSTART
	v_dot2_f32_f16 v12, v60, v64, v12
	;;#ASMEND
	;;#ASMSTART
	v_dot2_f32_f16 v12, v61, v65, v12
	;;#ASMEND
	;;#ASMSTART
	v_dot2_f32_f16 v12, v62, v66, v12
	;;#ASMEND
	;;#ASMSTART
	v_dot2_f32_f16 v12, v63, v67, v12
	;;#ASMEND
	s_waitcnt lgkmcnt(0)
	;;#ASMSTART
	v_dot2_f32_f16 v13, v68, v64, v13
	;;#ASMEND
	;;#ASMSTART
	v_dot2_f32_f16 v13, v69, v65, v13
	;;#ASMEND
	;;#ASMSTART
	v_dot2_f32_f16 v13, v70, v66, v13
	;;#ASMEND
	;;#ASMSTART
	v_dot2_f32_f16 v13, v71, v67, v13
	;;#ASMEND
	ds_read_b128 v[60:63], v37 offset:32
	;; [unrolled: 29-line block ×7, first 2 shown]
	ds_read_b128 v[64:67], v36 offset:240
	ds_read_b128 v[68:71], v37 offset:4720
	s_waitcnt lgkmcnt(1)
	;;#ASMSTART
	v_dot2_f32_f16 v12, v60, v64, v12
	;;#ASMEND
	;;#ASMSTART
	v_dot2_f32_f16 v12, v61, v65, v12
	;;#ASMEND
	;; [unrolled: 3-line block ×4, first 2 shown]
	s_waitcnt lgkmcnt(0)
	;;#ASMSTART
	v_dot2_f32_f16 v13, v68, v64, v13
	;;#ASMEND
	;;#ASMSTART
	v_dot2_f32_f16 v13, v69, v65, v13
	;;#ASMEND
	;; [unrolled: 3-line block ×4, first 2 shown]
	s_barrier
	global_load_dwordx4 v[60:63], v[72:73], off offset:256
	global_load_dwordx4 v[64:67], v[20:21], off offset:256
	s_waitcnt vmcnt(1)
	ds_write_b128 v34, v[60:63]
	s_waitcnt vmcnt(0)
	ds_write_b128 v35, v[64:67]
	s_waitcnt lgkmcnt(0)
	s_barrier
	ds_read_b128 v[60:63], v37
	ds_read_b128 v[64:67], v36 offset:256
	ds_read_b128 v[68:71], v37 offset:4608
	s_waitcnt lgkmcnt(1)
	;;#ASMSTART
	v_dot2_f32_f16 v12, v60, v64, v12
	;;#ASMEND
	;;#ASMSTART
	v_dot2_f32_f16 v12, v61, v65, v12
	;;#ASMEND
	;;#ASMSTART
	v_dot2_f32_f16 v12, v62, v66, v12
	;;#ASMEND
	;;#ASMSTART
	v_dot2_f32_f16 v12, v63, v67, v12
	;;#ASMEND
	s_waitcnt lgkmcnt(0)
	;;#ASMSTART
	v_dot2_f32_f16 v13, v68, v64, v13
	;;#ASMEND
	;;#ASMSTART
	v_dot2_f32_f16 v13, v69, v65, v13
	;;#ASMEND
	;;#ASMSTART
	v_dot2_f32_f16 v13, v70, v66, v13
	;;#ASMEND
	;;#ASMSTART
	v_dot2_f32_f16 v13, v71, v67, v13
	;;#ASMEND
	ds_read_b128 v[60:63], v37 offset:16
	ds_read_b128 v[64:67], v36 offset:272
	ds_read_b128 v[68:71], v37 offset:4624
	s_waitcnt lgkmcnt(1)
	;;#ASMSTART
	v_dot2_f32_f16 v12, v60, v64, v12
	;;#ASMEND
	;;#ASMSTART
	v_dot2_f32_f16 v12, v61, v65, v12
	;;#ASMEND
	;;#ASMSTART
	v_dot2_f32_f16 v12, v62, v66, v12
	;;#ASMEND
	;;#ASMSTART
	v_dot2_f32_f16 v12, v63, v67, v12
	;;#ASMEND
	s_waitcnt lgkmcnt(0)
	;;#ASMSTART
	v_dot2_f32_f16 v13, v68, v64, v13
	;;#ASMEND
	;;#ASMSTART
	v_dot2_f32_f16 v13, v69, v65, v13
	;;#ASMEND
	;;#ASMSTART
	v_dot2_f32_f16 v13, v70, v66, v13
	;;#ASMEND
	;;#ASMSTART
	v_dot2_f32_f16 v13, v71, v67, v13
	;;#ASMEND
	ds_read_b128 v[60:63], v37 offset:32
	;; [unrolled: 29-line block ×7, first 2 shown]
	ds_read_b128 v[64:67], v36 offset:368
	ds_read_b128 v[68:71], v37 offset:4720
	s_waitcnt lgkmcnt(1)
	;;#ASMSTART
	v_dot2_f32_f16 v12, v60, v64, v12
	;;#ASMEND
	;;#ASMSTART
	v_dot2_f32_f16 v12, v61, v65, v12
	;;#ASMEND
	;; [unrolled: 3-line block ×4, first 2 shown]
	s_waitcnt lgkmcnt(0)
	;;#ASMSTART
	v_dot2_f32_f16 v13, v68, v64, v13
	;;#ASMEND
	;;#ASMSTART
	v_dot2_f32_f16 v13, v69, v65, v13
	;;#ASMEND
	;; [unrolled: 3-line block ×4, first 2 shown]
	flat_load_ushort v20, v[14:15] offset:64
	flat_load_ushort v21, v[14:15]
	s_waitcnt lgkmcnt(0)
	s_barrier
	global_load_dwordx4 v[60:63], v[24:25], off
	global_load_dwordx4 v[64:67], v[22:23], off
	s_waitcnt vmcnt(0)
	v_cvt_f32_f16_e32 v15, v20
	v_cvt_f32_f16_e32 v14, v21
	v_pk_add_f32 v[14:15], v[12:13], v[14:15]
	v_add_f32_e32 v12, 0x40051340, v14
	v_add_f32_e32 v13, 0x40051340, v15
	v_max3_f32 v12, v52, v12, v13
	ds_bpermute_b32 v13, v58, v12
	s_waitcnt lgkmcnt(0)
	v_max_f32_e32 v13, v13, v13
	v_max_f32_e32 v12, v12, v13
	ds_bpermute_b32 v13, v57, v12
	s_waitcnt lgkmcnt(0)
	v_max_f32_e32 v13, v13, v13
	v_max_f32_e32 v12, v12, v13
	;; [unrolled: 4-line block ×5, first 2 shown]
	v_sub_f32_e32 v13, v52, v12
	v_pk_add_f32 v[14:15], v[14:15], v[12:13] op_sel_hi:[1,0] neg_lo:[0,1] neg_hi:[0,1]
	v_mul_f32_e32 v21, 0x3fb8aa3b, v14
	v_mul_f32_e32 v20, 0x3fb8aa3b, v15
	;; [unrolled: 1-line block ×3, first 2 shown]
	v_fma_f32 v25, v14, s31, -v21
	v_rndne_f32_e32 v52, v21
	v_cmp_ngt_f32_e32 vcc, s36, v14
	v_cmp_nlt_f32_e64 s[8:9], s37, v14
	v_fma_f32 v23, v15, s31, -v20
	v_rndne_f32_e32 v24, v20
	v_fma_f32 v54, v13, s31, -v22
	v_rndne_f32_e32 v55, v22
	v_fmac_f32_e32 v25, 0x32a5705f, v14
	v_sub_f32_e32 v14, v21, v52
	v_cmp_ngt_f32_e64 s[0:1], s36, v13
	v_cmp_ngt_f32_e64 s[2:3], s36, v15
	v_cmp_nlt_f32_e64 s[10:11], s37, v13
	v_cmp_nlt_f32_e64 s[12:13], s37, v15
	v_fmac_f32_e32 v23, 0x32a5705f, v15
	v_sub_f32_e32 v15, v20, v24
	v_fmac_f32_e32 v54, 0x32a5705f, v13
	v_sub_f32_e32 v13, v22, v55
	v_add_f32_e32 v14, v14, v25
	v_cvt_i32_f32_e32 v21, v52
	v_add_f32_e32 v15, v15, v23
	v_add_f32_e32 v13, v13, v54
	v_exp_f32_e32 v14, v14
	v_cvt_i32_f32_e32 v20, v24
	v_cvt_i32_f32_e32 v22, v55
	v_exp_f32_e32 v15, v15
	v_exp_f32_e32 v13, v13
	v_ldexp_f32 v14, v14, v21
	v_cndmask_b32_e32 v14, 0, v14, vcc
	v_ldexp_f32 v15, v15, v20
	v_ldexp_f32 v13, v13, v22
	v_cndmask_b32_e64 v15, 0, v15, s[2:3]
	v_cndmask_b32_e64 v13, 0, v13, s[0:1]
	v_cndmask_b32_e64 v14, v46, v14, s[8:9]
	v_cndmask_b32_e64 v15, v46, v15, s[12:13]
	v_cndmask_b32_e64 v13, v46, v13, s[10:11]
	v_cvt_f16_f32_e32 v20, v14
	v_add_f32_e32 v14, v14, v15
	v_cvt_f16_f32_e32 v15, v15
	v_cvt_f16_f32_e32 v24, v13
	v_fmac_f32_e32 v14, v53, v13
	ds_write_b16 v39, v20
	ds_write_b16 v39, v15 offset:64
	ds_write_b128 v40, v[60:63]
	ds_write_b128 v41, v[64:67]
	s_waitcnt lgkmcnt(0)
	s_barrier
	ds_read2_b64 v[20:23], v42 offset1:32
	ds_read_b128 v[52:55], v38
	ds_read_b128 v[56:59], v38 offset:16
	ds_read_b128 v[60:63], v38 offset:32
	;; [unrolled: 1-line block ×3, first 2 shown]
	ds_read2_b64 v[68:71], v42 offset0:64 offset1:96
	ds_read2_b64 v[72:75], v42 offset0:128 offset1:160
	ds_read2_b64 v[76:79], v42 offset0:192 offset1:224
	ds_read2_b64 v[80:83], v48 offset1:32
	ds_read2_b64 v[84:87], v48 offset0:64 offset1:96
	ds_read2_b64 v[88:91], v48 offset0:128 offset1:160
	ds_read2_b64 v[92:95], v48 offset0:192 offset1:224
	ds_read2_b64 v[96:99], v49 offset1:32
	;; [unrolled: 4-line block ×3, first 2 shown]
	ds_read2_b64 v[116:119], v50 offset0:64 offset1:96
	s_waitcnt lgkmcnt(14)
	v_pk_mul_f16 v13, v20, v52 op_sel_hi:[1,0]
	v_pk_mul_f16 v15, v21, v52 op_sel_hi:[1,0]
	v_pk_fma_f16 v13, v44, v24, v13 op_sel_hi:[1,0,1]
	v_pk_fma_f16 v15, v51, v24, v15 op_sel_hi:[1,0,1]
	v_pk_fma_f16 v13, v22, v52, v13 op_sel:[0,1,0]
	v_pk_fma_f16 v15, v23, v52, v15 op_sel:[0,1,0]
	s_waitcnt lgkmcnt(12)
	v_pk_fma_f16 v13, v68, v53, v13 op_sel_hi:[1,0,1]
	v_pk_fma_f16 v15, v69, v53, v15 op_sel_hi:[1,0,1]
	ds_read2_b64 v[20:23], v50 offset0:128 offset1:160
	v_pk_fma_f16 v13, v70, v53, v13 op_sel:[0,1,0]
	v_pk_fma_f16 v15, v71, v53, v15 op_sel:[0,1,0]
	ds_read2_b64 v[68:71], v50 offset0:192 offset1:224
	s_waitcnt lgkmcnt(0)
	s_barrier
	global_load_dwordx4 v[120:123], v[18:19], off
	v_pk_fma_f16 v13, v72, v54, v13 op_sel_hi:[1,0,1]
	global_load_dwordx4 v[16:19], v[16:17], off
	v_pk_fma_f16 v15, v73, v54, v15 op_sel_hi:[1,0,1]
	v_pk_fma_f16 v13, v74, v54, v13 op_sel:[0,1,0]
	v_pk_fma_f16 v15, v75, v54, v15 op_sel:[0,1,0]
	v_pk_fma_f16 v13, v76, v55, v13 op_sel_hi:[1,0,1]
	v_pk_fma_f16 v15, v77, v55, v15 op_sel_hi:[1,0,1]
	v_pk_fma_f16 v13, v78, v55, v13 op_sel:[0,1,0]
	v_pk_fma_f16 v15, v79, v55, v15 op_sel:[0,1,0]
	v_pk_fma_f16 v13, v80, v56, v13 op_sel_hi:[1,0,1]
	;; [unrolled: 4-line block ×13, first 2 shown]
	v_pk_fma_f16 v15, v69, v67, v15 op_sel_hi:[1,0,1]
	v_pk_fma_f16 v13, v70, v67, v13 op_sel:[0,1,0]
	v_pk_fma_f16 v15, v71, v67, v15 op_sel:[0,1,0]
	s_waitcnt vmcnt(1)
	ds_write_b128 v40, v[120:123]
	s_waitcnt vmcnt(0)
	ds_write_b128 v41, v[16:19]
	s_waitcnt lgkmcnt(0)
	s_barrier
	ds_read2_b64 v[16:19], v42 offset1:32
	ds_read_b128 v[20:23], v38 offset:64
	ds_read_b128 v[52:55], v38 offset:80
	;; [unrolled: 1-line block ×4, first 2 shown]
	ds_read2_b64 v[64:67], v42 offset0:64 offset1:96
	ds_read2_b64 v[68:71], v42 offset0:128 offset1:160
	ds_read2_b64 v[72:75], v42 offset0:192 offset1:224
	ds_read2_b64 v[76:79], v48 offset1:32
	ds_read2_b64 v[80:83], v48 offset0:64 offset1:96
	ds_read2_b64 v[84:87], v48 offset0:128 offset1:160
	ds_read2_b64 v[88:91], v48 offset0:192 offset1:224
	ds_read2_b64 v[92:95], v49 offset1:32
	;; [unrolled: 4-line block ×3, first 2 shown]
	ds_read2_b64 v[112:115], v50 offset0:64 offset1:96
	ds_read2_b64 v[116:119], v50 offset0:128 offset1:160
	s_waitcnt lgkmcnt(14)
	v_pk_fma_f16 v13, v16, v20, v13 op_sel_hi:[1,0,1]
	v_pk_fma_f16 v15, v17, v20, v15 op_sel_hi:[1,0,1]
	v_pk_fma_f16 v13, v18, v20, v13 op_sel:[0,1,0]
	v_pk_fma_f16 v15, v19, v20, v15 op_sel:[0,1,0]
	s_waitcnt lgkmcnt(13)
	v_pk_fma_f16 v13, v64, v21, v13 op_sel_hi:[1,0,1]
	v_pk_fma_f16 v15, v65, v21, v15 op_sel_hi:[1,0,1]
	v_pk_fma_f16 v13, v66, v21, v13 op_sel:[0,1,0]
	v_pk_fma_f16 v15, v67, v21, v15 op_sel:[0,1,0]
	;; [unrolled: 5-line block ×12, first 2 shown]
	ds_read2_b64 v[16:19], v50 offset0:192 offset1:224
	s_waitcnt lgkmcnt(0)
	s_barrier
	s_load_dword s0, s[14:15], 0x4
	v_pk_fma_f16 v13, v108, v60, v13 op_sel_hi:[1,0,1]
	v_pk_fma_f16 v15, v109, v60, v15 op_sel_hi:[1,0,1]
	v_pk_fma_f16 v13, v110, v60, v13 op_sel:[0,1,0]
	v_pk_fma_f16 v15, v111, v60, v15 op_sel:[0,1,0]
	v_pk_fma_f16 v13, v112, v61, v13 op_sel_hi:[1,0,1]
	v_pk_fma_f16 v15, v113, v61, v15 op_sel_hi:[1,0,1]
	v_pk_fma_f16 v13, v114, v61, v13 op_sel:[0,1,0]
	v_pk_fma_f16 v15, v115, v61, v15 op_sel:[0,1,0]
	v_pk_fma_f16 v13, v116, v62, v13 op_sel_hi:[1,0,1]
	v_pk_fma_f16 v15, v117, v62, v15 op_sel_hi:[1,0,1]
	s_waitcnt lgkmcnt(0)
	s_lshl_b32 s0, s0, 6
	v_pk_fma_f16 v13, v118, v62, v13 op_sel:[0,1,0]
	v_pk_fma_f16 v15, v119, v62, v15 op_sel:[0,1,0]
	s_add_i32 s6, s0, s6
	v_pk_fma_f16 v13, v16, v63, v13 op_sel_hi:[1,0,1]
	v_pk_fma_f16 v15, v17, v63, v15 op_sel_hi:[1,0,1]
	s_cmp_lt_i32 s6, s28
	v_pk_fma_f16 v44, v18, v63, v13 op_sel:[0,1,0]
	v_pk_fma_f16 v51, v19, v63, v15 op_sel:[0,1,0]
	s_cbranch_scc1 .LBB16_11
.LBB16_12:
	v_cmp_lt_i32_e32 vcc, v33, v28
	v_cndmask_b32_e32 v2, v3, v33, vcc
	v_lshlrev_b32_e32 v2, 2, v2
	ds_bpermute_b32 v2, v2, v14
	v_cmp_lt_i32_e32 vcc, v32, v28
	v_cndmask_b32_e32 v4, v3, v32, vcc
	v_lshlrev_b32_e32 v4, 2, v4
	v_cmp_lt_i32_e32 vcc, v31, v28
	s_waitcnt lgkmcnt(0)
	v_add_f32_e32 v2, v14, v2
	ds_bpermute_b32 v4, v4, v2
	v_cndmask_b32_e32 v5, v3, v31, vcc
	v_lshlrev_b32_e32 v5, 2, v5
	v_cmp_lt_i32_e32 vcc, v30, v28
	s_cmp_eq_u64 s[16:17], 0
	s_waitcnt lgkmcnt(0)
	v_add_f32_e32 v2, v2, v4
	ds_bpermute_b32 v4, v5, v2
	v_cndmask_b32_e32 v5, v3, v30, vcc
	v_lshlrev_b32_e32 v5, 2, v5
	v_cmp_lt_i32_e32 vcc, v29, v28
	v_cndmask_b32_e32 v3, v3, v29, vcc
	s_waitcnt lgkmcnt(0)
	v_add_f32_e32 v4, v2, v4
	ds_bpermute_b32 v5, v5, v4
	v_lshlrev_b32_e32 v3, 2, v3
	s_cselect_b64 s[0:1], -1, 0
	s_cmp_lg_u32 s7, 0
	s_cselect_b64 s[2:3], -1, 0
	s_waitcnt lgkmcnt(0)
	v_add_f32_e32 v4, v4, v5
	ds_bpermute_b32 v3, v3, v4
	s_or_b64 s[0:1], s[2:3], s[0:1]
	v_add_u32_e32 v2, s29, v26
	s_and_b64 vcc, exec, s[0:1]
	s_waitcnt lgkmcnt(0)
	v_add_f32_e32 v13, v4, v3
	s_cbranch_vccnz .LBB16_14
; %bb.13:
	v_ashrrev_i32_e32 v3, 31, v2
	v_lshlrev_b64 v[4:5], 2, v[2:3]
	v_mov_b32_e32 v3, s17
	v_add_co_u32_e32 v4, vcc, s16, v4
	v_addc_co_u32_e32 v5, vcc, v3, v5, vcc
	global_load_dword v3, v[4:5], off
	v_max_f32_e32 v4, v12, v12
	s_mov_b32 s0, 0x3fb8aa3b
	s_mov_b32 s1, 0xc2ce8ed0
	s_waitcnt vmcnt(0)
	v_max_f32_e32 v5, v3, v3
	v_max_f32_e32 v4, v4, v5
	v_sub_f32_e32 v5, v12, v4
	v_sub_f32_e32 v3, v3, v4
	v_mul_f32_e32 v6, 0x3fb8aa3b, v5
	v_mul_f32_e32 v7, 0x3fb8aa3b, v3
	v_fma_f32 v8, v5, s0, -v6
	v_rndne_f32_e32 v9, v6
	v_fma_f32 v10, v3, s0, -v7
	v_rndne_f32_e32 v11, v7
	v_fmac_f32_e32 v8, 0x32a5705f, v5
	v_sub_f32_e32 v6, v6, v9
	v_fmac_f32_e32 v10, 0x32a5705f, v3
	v_sub_f32_e32 v7, v7, v11
	v_add_f32_e32 v6, v6, v8
	v_cvt_i32_f32_e32 v9, v9
	v_add_f32_e32 v7, v7, v10
	v_exp_f32_e32 v6, v6
	v_cvt_i32_f32_e32 v11, v11
	v_exp_f32_e32 v7, v7
	v_cmp_ngt_f32_e32 vcc, s1, v5
	v_ldexp_f32 v6, v6, v9
	s_mov_b32 s0, 0x42b17218
	v_ldexp_f32 v7, v7, v11
	v_cndmask_b32_e32 v6, 0, v6, vcc
	v_cmp_ngt_f32_e32 vcc, s1, v3
	v_mov_b32_e32 v8, 0x7f800000
	v_cndmask_b32_e32 v7, 0, v7, vcc
	v_cmp_nlt_f32_e32 vcc, s0, v5
	v_cndmask_b32_e32 v6, v8, v6, vcc
	v_cvt_f16_f32_e32 v9, v6
	v_cmp_nlt_f32_e32 vcc, s0, v3
	v_cndmask_b32_e32 v5, v8, v7, vcc
	v_fmac_f32_e32 v5, v13, v6
	v_pk_mul_f16 v44, v9, v44 op_sel_hi:[0,1]
	v_pk_mul_f16 v51, v9, v51 op_sel_hi:[0,1]
	v_pk_mov_b32 v[12:13], v[4:5], v[4:5] op_sel:[0,1]
	s_branch .LBB16_15
.LBB16_14:
	v_mov_b32_e32 v5, v13
.LBB16_15:
	v_div_scale_f32 v3, s[0:1], v5, v5, 1.0
	v_rcp_f32_e32 v4, v3
	s_load_dword s4, s[4:5], 0xd4
	s_mul_i32 s33, s33, s26
	v_add_u32_e32 v1, s33, v1
	v_fma_f32 v6, -v3, v4, 1.0
	v_fmac_f32_e32 v4, v6, v4
	v_div_scale_f32 v6, vcc, 1.0, v5, 1.0
	v_mul_f32_e32 v7, v6, v4
	v_fma_f32 v8, -v3, v7, v6
	v_fmac_f32_e32 v7, v8, v4
	v_fma_f32 v3, -v3, v7, v6
	s_waitcnt lgkmcnt(0)
	s_cmp_lg_u32 s4, 1
	v_div_fmas_f32 v3, v3, v4, v7
	v_div_fixup_f32 v3, v3, v5, 1.0
	s_cselect_b64 s[0:1], -1, 0
	v_cndmask_b32_e64 v6, v3, 1.0, s[0:1]
	v_mad_u64_u32 v[2:3], s[2:3], v1, s27, v[2:3]
	v_mul_lo_u32 v1, s4, v2
	v_add_u32_e32 v2, s7, v1
	v_lshl_add_u32 v4, v2, 7, v27
	v_mov_b32_e32 v5, 0
	v_lshlrev_b64 v[4:5], 2, v[4:5]
	v_cvt_f32_f16_sdwa v9, v44 dst_sel:DWORD dst_unused:UNUSED_PAD src0_sel:WORD_1
	v_cvt_f32_f16_e32 v8, v44
	v_cvt_f32_f16_sdwa v11, v51 dst_sel:DWORD dst_unused:UNUSED_PAD src0_sel:WORD_1
	v_cvt_f32_f16_e32 v10, v51
	v_mov_b32_e32 v1, s21
	v_add_co_u32_e32 v14, vcc, s20, v4
	v_addc_co_u32_e32 v15, vcc, v1, v5, vcc
	v_cmp_eq_u32_e32 vcc, 0, v0
	v_pk_mul_f32 v[4:5], v[6:7], v[8:9] op_sel_hi:[0,1]
	v_pk_mul_f32 v[6:7], v[6:7], v[10:11] op_sel_hi:[0,1]
	s_and_b64 s[0:1], vcc, s[0:1]
	global_store_dwordx4 v[14:15], v[4:7], off
	s_and_saveexec_b64 s[2:3], s[0:1]
	s_cbranch_execz .LBB16_17
; %bb.16:
	v_ashrrev_i32_e32 v3, 31, v2
	v_lshlrev_b64 v[0:1], 3, v[2:3]
	v_mov_b32_e32 v2, s23
	v_add_co_u32_e32 v0, vcc, s22, v0
	v_addc_co_u32_e32 v1, vcc, v2, v1, vcc
	global_store_dwordx2 v[0:1], v[12:13], off
.LBB16_17:
	s_endpgm
	.section	.rodata,"a",@progbits
	.p2align	6, 0x0
	.amdhsa_kernel _ZL15flash_attn_tileILi192ELi128ELi1ELi8ELb0EEvPKcS1_S1_S1_S1_PKiPfP15HIP_vector_typeIfLj2EEffffjfiS5_IjLj3EEiiiiiiiiiiiliiliiiiil
		.amdhsa_group_segment_fixed_size 13312
		.amdhsa_private_segment_fixed_size 0
		.amdhsa_kernarg_size 464
		.amdhsa_user_sgpr_count 6
		.amdhsa_user_sgpr_private_segment_buffer 1
		.amdhsa_user_sgpr_dispatch_ptr 0
		.amdhsa_user_sgpr_queue_ptr 0
		.amdhsa_user_sgpr_kernarg_segment_ptr 1
		.amdhsa_user_sgpr_dispatch_id 0
		.amdhsa_user_sgpr_flat_scratch_init 0
		.amdhsa_user_sgpr_kernarg_preload_length 0
		.amdhsa_user_sgpr_kernarg_preload_offset 0
		.amdhsa_user_sgpr_private_segment_size 0
		.amdhsa_uses_dynamic_stack 0
		.amdhsa_system_sgpr_private_segment_wavefront_offset 0
		.amdhsa_system_sgpr_workgroup_id_x 1
		.amdhsa_system_sgpr_workgroup_id_y 1
		.amdhsa_system_sgpr_workgroup_id_z 1
		.amdhsa_system_sgpr_workgroup_info 0
		.amdhsa_system_vgpr_workitem_id 1
		.amdhsa_next_free_vgpr 124
		.amdhsa_next_free_sgpr 44
		.amdhsa_accum_offset 124
		.amdhsa_reserve_vcc 1
		.amdhsa_reserve_flat_scratch 0
		.amdhsa_float_round_mode_32 0
		.amdhsa_float_round_mode_16_64 0
		.amdhsa_float_denorm_mode_32 3
		.amdhsa_float_denorm_mode_16_64 3
		.amdhsa_dx10_clamp 1
		.amdhsa_ieee_mode 1
		.amdhsa_fp16_overflow 0
		.amdhsa_tg_split 0
		.amdhsa_exception_fp_ieee_invalid_op 0
		.amdhsa_exception_fp_denorm_src 0
		.amdhsa_exception_fp_ieee_div_zero 0
		.amdhsa_exception_fp_ieee_overflow 0
		.amdhsa_exception_fp_ieee_underflow 0
		.amdhsa_exception_fp_ieee_inexact 0
		.amdhsa_exception_int_div_zero 0
	.end_amdhsa_kernel
	.section	.text._ZL15flash_attn_tileILi192ELi128ELi1ELi8ELb0EEvPKcS1_S1_S1_S1_PKiPfP15HIP_vector_typeIfLj2EEffffjfiS5_IjLj3EEiiiiiiiiiiiliiliiiiil,"axG",@progbits,_ZL15flash_attn_tileILi192ELi128ELi1ELi8ELb0EEvPKcS1_S1_S1_S1_PKiPfP15HIP_vector_typeIfLj2EEffffjfiS5_IjLj3EEiiiiiiiiiiiliiliiiiil,comdat
.Lfunc_end16:
	.size	_ZL15flash_attn_tileILi192ELi128ELi1ELi8ELb0EEvPKcS1_S1_S1_S1_PKiPfP15HIP_vector_typeIfLj2EEffffjfiS5_IjLj3EEiiiiiiiiiiiliiliiiiil, .Lfunc_end16-_ZL15flash_attn_tileILi192ELi128ELi1ELi8ELb0EEvPKcS1_S1_S1_S1_PKiPfP15HIP_vector_typeIfLj2EEffffjfiS5_IjLj3EEiiiiiiiiiiiliiliiiiil
                                        ; -- End function
	.section	.AMDGPU.csdata,"",@progbits
; Kernel info:
; codeLenInByte = 7184
; NumSgprs: 48
; NumVgprs: 124
; NumAgprs: 0
; TotalNumVgprs: 124
; ScratchSize: 0
; MemoryBound: 0
; FloatMode: 240
; IeeeMode: 1
; LDSByteSize: 13312 bytes/workgroup (compile time only)
; SGPRBlocks: 5
; VGPRBlocks: 15
; NumSGPRsForWavesPerEU: 48
; NumVGPRsForWavesPerEU: 124
; AccumOffset: 124
; Occupancy: 4
; WaveLimiterHint : 1
; COMPUTE_PGM_RSRC2:SCRATCH_EN: 0
; COMPUTE_PGM_RSRC2:USER_SGPR: 6
; COMPUTE_PGM_RSRC2:TRAP_HANDLER: 0
; COMPUTE_PGM_RSRC2:TGID_X_EN: 1
; COMPUTE_PGM_RSRC2:TGID_Y_EN: 1
; COMPUTE_PGM_RSRC2:TGID_Z_EN: 1
; COMPUTE_PGM_RSRC2:TIDIG_COMP_CNT: 1
; COMPUTE_PGM_RSRC3_GFX90A:ACCUM_OFFSET: 30
; COMPUTE_PGM_RSRC3_GFX90A:TG_SPLIT: 0
	.section	.text._ZL33flash_attn_stream_k_fixup_uniformILi128ELi1ELi8EEvPfPK15HIP_vector_typeIfLj2EEiiiiiiS1_IjLj3EES5_S5_,"axG",@progbits,_ZL33flash_attn_stream_k_fixup_uniformILi128ELi1ELi8EEvPfPK15HIP_vector_typeIfLj2EEiiiiiiS1_IjLj3EES5_S5_,comdat
	.globl	_ZL33flash_attn_stream_k_fixup_uniformILi128ELi1ELi8EEvPfPK15HIP_vector_typeIfLj2EEiiiiiiS1_IjLj3EES5_S5_ ; -- Begin function _ZL33flash_attn_stream_k_fixup_uniformILi128ELi1ELi8EEvPfPK15HIP_vector_typeIfLj2EEiiiiiiS1_IjLj3EES5_S5_
	.p2align	8
	.type	_ZL33flash_attn_stream_k_fixup_uniformILi128ELi1ELi8EEvPfPK15HIP_vector_typeIfLj2EEiiiiiiS1_IjLj3EES5_S5_,@function
_ZL33flash_attn_stream_k_fixup_uniformILi128ELi1ELi8EEvPfPK15HIP_vector_typeIfLj2EEiiiiiiS1_IjLj3EES5_S5_: ; @_ZL33flash_attn_stream_k_fixup_uniformILi128ELi1ELi8EEvPfPK15HIP_vector_typeIfLj2EEiiiiiiS1_IjLj3EES5_S5_
; %bb.0:
	s_load_dwordx8 s[12:19], s[4:5], 0x1c
	s_load_dwordx2 s[10:11], s[4:5], 0x10
	s_load_dwordx4 s[0:3], s[4:5], 0x3c
	s_waitcnt lgkmcnt(0)
	s_mul_hi_u32 s9, s15, s6
	s_add_i32 s9, s6, s9
	s_lshr_b32 s9, s9, s16
	s_mul_i32 s15, s9, s17
	s_sub_i32 s16, s6, s15
	s_mul_hi_u32 s15, s16, s18
	s_add_i32 s15, s16, s15
	s_lshr_b32 s15, s15, s19
	s_mul_i32 s0, s15, s0
	s_sub_i32 s0, s16, s0
	;; [unrolled: 5-line block ×3, first 2 shown]
	s_lshl_b32 s17, s1, 3
	s_add_i32 s16, s16, s7
	s_cmp_lt_i32 s16, s10
	s_cselect_b64 s[0:1], -1, 0
	s_add_i32 s17, s17, s8
	s_cmp_lt_i32 s17, s13
	s_cselect_b64 s[2:3], -1, 0
	s_and_b64 s[0:1], s[0:1], s[2:3]
	s_andn2_b64 vcc, exec, s[0:1]
	s_cbranch_vccnz .LBB17_6
; %bb.1:
	s_mul_i32 s9, s9, s10
	s_load_dwordx4 s[0:3], s[4:5], 0x0
	s_mul_i32 s15, s15, s13
	s_add_i32 s4, s16, s9
	s_mul_i32 s4, s4, s11
	s_add_i32 s5, s17, s15
	s_add_i32 s5, s5, s4
	v_lshl_or_b32 v2, s5, 7, v0
	v_ashrrev_i32_e32 v3, 31, v2
	v_lshlrev_b64 v[2:3], 2, v[2:3]
	s_waitcnt lgkmcnt(0)
	v_mov_b32_e32 v1, s1
	v_add_co_u32_e32 v2, vcc, s0, v2
	v_addc_co_u32_e32 v3, vcc, v1, v3, vcc
	global_load_dword v8, v[2:3], off
	s_mul_i32 s9, s6, s14
	s_add_i32 s4, s9, s14
	s_add_i32 s0, s7, s4
	s_lshl_b32 s0, s0, 3
	s_add_i32 s0, s0, s8
	s_add_i32 s0, s0, -8
	s_ashr_i32 s1, s0, 31
	s_lshl_b64 s[0:1], s[0:1], 3
	s_add_u32 s0, s2, s0
	s_addc_u32 s1, s3, s1
	s_load_dword s5, s[0:1], 0x4
	s_add_i32 s10, s4, -2
	s_cmp_lt_i32 s10, s9
	s_cbranch_scc1 .LBB17_4
; %bb.2:
	s_lshl_b32 s10, s12, 5
	s_ashr_i32 s11, s10, 31
	s_lshl_b64 s[10:11], s[10:11], 2
	s_add_u32 s10, s2, s10
	s_addc_u32 s13, s3, s11
	s_load_dword s0, s[0:1], 0x0
	s_add_i32 s6, s6, 1
	s_lshl_b32 s1, s8, 7
	s_add_i32 s12, s7, s12
	s_mul_i32 s6, s14, s6
	s_lshl_b32 s7, s7, 10
	s_add_i32 s12, s12, s4
	s_lshl_b32 s6, s6, 10
	s_add_i32 s1, s1, s7
	s_add_i32 s11, s4, -1
	s_lshl_b32 s4, s12, 3
	s_add_i32 s1, s1, s6
	s_add_i32 s4, s8, s4
	v_or_b32_e32 v0, s1, v0
	s_add_i32 s4, s4, -16
	v_add_u32_e32 v0, 0xfffff800, v0
	s_waitcnt lgkmcnt(0)
	v_mov_b32_e32 v7, s5
	v_mov_b32_e32 v6, s0
	;; [unrolled: 1-line block ×3, first 2 shown]
	s_mov_b32 s6, 0x3fb8aa3b
	s_mov_b32 s7, 0xc2ce8ed0
	;; [unrolled: 1-line block ×3, first 2 shown]
	v_mov_b32_e32 v5, 0x7f800000
	s_mov_b32 s12, 0xc1a00000
.LBB17_3:                               ; =>This Inner Loop Header: Depth=1
	v_ashrrev_i32_e32 v1, 31, v0
	v_lshlrev_b64 v[10:11], 2, v[0:1]
	v_add_co_u32_e32 v10, vcc, s10, v10
	v_addc_co_u32_e32 v11, vcc, v4, v11, vcc
	global_load_dword v1, v[10:11], off
	s_ashr_i32 s5, s4, 31
	s_lshl_b64 s[0:1], s[4:5], 3
	s_add_u32 s0, s2, s0
	s_addc_u32 s1, s3, s1
	s_load_dwordx2 s[14:15], s[0:1], 0x0
	s_waitcnt vmcnt(1)
	v_mov_b32_e32 v9, v8
	v_max_f32_e32 v8, v6, v6
	v_mov_b32_e32 v10, v7
	s_add_i32 s11, s11, -1
	s_waitcnt lgkmcnt(0)
	v_max_f32_e64 v7, s14, s14
	v_max_f32_e32 v7, v8, v7
	v_sub_f32_e32 v11, s14, v7
	v_sub_f32_e32 v8, v6, v7
	v_mul_f32_e32 v12, 0x3fb8aa3b, v11
	v_mov_b32_e32 v6, v7
	v_mul_f32_e32 v7, 0x3fb8aa3b, v8
	v_fma_f32 v15, v11, s6, -v12
	v_rndne_f32_e32 v16, v12
	v_fma_f32 v13, v8, s6, -v7
	v_rndne_f32_e32 v14, v7
	v_fmac_f32_e32 v15, 0x32a5705f, v11
	v_sub_f32_e32 v12, v12, v16
	v_fmac_f32_e32 v13, 0x32a5705f, v8
	v_sub_f32_e32 v7, v7, v14
	v_add_f32_e32 v12, v12, v15
	v_cvt_i32_f32_e32 v16, v16
	v_add_f32_e32 v7, v7, v13
	v_exp_f32_e32 v12, v12
	v_cvt_i32_f32_e32 v14, v14
	v_exp_f32_e32 v7, v7
	v_cmp_ngt_f32_e32 vcc, s7, v11
	v_ldexp_f32 v12, v12, v16
	v_cmp_ngt_f32_e64 s[0:1], s7, v8
	v_ldexp_f32 v7, v7, v14
	v_cndmask_b32_e32 v12, 0, v12, vcc
	v_cmp_nlt_f32_e32 vcc, s8, v11
	v_cndmask_b32_e64 v7, 0, v7, s[0:1]
	v_cmp_nlt_f32_e64 s[0:1], s8, v8
	v_cndmask_b32_e32 v12, v5, v12, vcc
	v_cmp_le_f32_e32 vcc, s12, v11
	v_cndmask_b32_e64 v7, v5, v7, s[0:1]
	v_cmp_le_f32_e64 s[0:1], s12, v8
	v_cndmask_b32_e32 v8, 0, v12, vcc
	s_add_i32 s4, s4, -8
	v_cndmask_b32_e64 v11, 0, v7, s[0:1]
	v_mul_f32_e32 v7, s15, v8
	v_add_u32_e32 v0, 0xfffffc00, v0
	s_cmp_le_i32 s11, s9
	v_fmac_f32_e32 v7, v10, v11
	s_waitcnt vmcnt(0)
	v_mul_f32_e32 v8, v1, v8
	v_fmac_f32_e32 v8, v9, v11
	s_cbranch_scc0 .LBB17_3
	s_branch .LBB17_5
.LBB17_4:
	s_waitcnt lgkmcnt(0)
	v_mov_b32_e32 v7, s5
.LBB17_5:
	s_waitcnt vmcnt(0)
	v_div_scale_f32 v0, s[0:1], v7, v7, v8
	v_rcp_f32_e32 v1, v0
	v_div_scale_f32 v4, vcc, v8, v7, v8
	v_fma_f32 v5, -v0, v1, 1.0
	v_fmac_f32_e32 v1, v5, v1
	v_mul_f32_e32 v5, v4, v1
	v_fma_f32 v6, -v0, v5, v4
	v_fmac_f32_e32 v5, v6, v1
	v_fma_f32 v0, -v0, v5, v4
	v_div_fmas_f32 v0, v0, v1, v5
	v_div_fixup_f32 v0, v0, v7, v8
	global_store_dword v[2:3], v0, off
.LBB17_6:
	s_endpgm
	.section	.rodata,"a",@progbits
	.p2align	6, 0x0
	.amdhsa_kernel _ZL33flash_attn_stream_k_fixup_uniformILi128ELi1ELi8EEvPfPK15HIP_vector_typeIfLj2EEiiiiiiS1_IjLj3EES5_S5_
		.amdhsa_group_segment_fixed_size 0
		.amdhsa_private_segment_fixed_size 0
		.amdhsa_kernarg_size 76
		.amdhsa_user_sgpr_count 6
		.amdhsa_user_sgpr_private_segment_buffer 1
		.amdhsa_user_sgpr_dispatch_ptr 0
		.amdhsa_user_sgpr_queue_ptr 0
		.amdhsa_user_sgpr_kernarg_segment_ptr 1
		.amdhsa_user_sgpr_dispatch_id 0
		.amdhsa_user_sgpr_flat_scratch_init 0
		.amdhsa_user_sgpr_kernarg_preload_length 0
		.amdhsa_user_sgpr_kernarg_preload_offset 0
		.amdhsa_user_sgpr_private_segment_size 0
		.amdhsa_uses_dynamic_stack 0
		.amdhsa_system_sgpr_private_segment_wavefront_offset 0
		.amdhsa_system_sgpr_workgroup_id_x 1
		.amdhsa_system_sgpr_workgroup_id_y 1
		.amdhsa_system_sgpr_workgroup_id_z 1
		.amdhsa_system_sgpr_workgroup_info 0
		.amdhsa_system_vgpr_workitem_id 0
		.amdhsa_next_free_vgpr 17
		.amdhsa_next_free_sgpr 20
		.amdhsa_accum_offset 20
		.amdhsa_reserve_vcc 1
		.amdhsa_reserve_flat_scratch 0
		.amdhsa_float_round_mode_32 0
		.amdhsa_float_round_mode_16_64 0
		.amdhsa_float_denorm_mode_32 3
		.amdhsa_float_denorm_mode_16_64 3
		.amdhsa_dx10_clamp 1
		.amdhsa_ieee_mode 1
		.amdhsa_fp16_overflow 0
		.amdhsa_tg_split 0
		.amdhsa_exception_fp_ieee_invalid_op 0
		.amdhsa_exception_fp_denorm_src 0
		.amdhsa_exception_fp_ieee_div_zero 0
		.amdhsa_exception_fp_ieee_overflow 0
		.amdhsa_exception_fp_ieee_underflow 0
		.amdhsa_exception_fp_ieee_inexact 0
		.amdhsa_exception_int_div_zero 0
	.end_amdhsa_kernel
	.section	.text._ZL33flash_attn_stream_k_fixup_uniformILi128ELi1ELi8EEvPfPK15HIP_vector_typeIfLj2EEiiiiiiS1_IjLj3EES5_S5_,"axG",@progbits,_ZL33flash_attn_stream_k_fixup_uniformILi128ELi1ELi8EEvPfPK15HIP_vector_typeIfLj2EEiiiiiiS1_IjLj3EES5_S5_,comdat
.Lfunc_end17:
	.size	_ZL33flash_attn_stream_k_fixup_uniformILi128ELi1ELi8EEvPfPK15HIP_vector_typeIfLj2EEiiiiiiS1_IjLj3EES5_S5_, .Lfunc_end17-_ZL33flash_attn_stream_k_fixup_uniformILi128ELi1ELi8EEvPfPK15HIP_vector_typeIfLj2EEiiiiiiS1_IjLj3EES5_S5_
                                        ; -- End function
	.section	.AMDGPU.csdata,"",@progbits
; Kernel info:
; codeLenInByte = 828
; NumSgprs: 24
; NumVgprs: 17
; NumAgprs: 0
; TotalNumVgprs: 17
; ScratchSize: 0
; MemoryBound: 0
; FloatMode: 240
; IeeeMode: 1
; LDSByteSize: 0 bytes/workgroup (compile time only)
; SGPRBlocks: 2
; VGPRBlocks: 2
; NumSGPRsForWavesPerEU: 24
; NumVGPRsForWavesPerEU: 17
; AccumOffset: 20
; Occupancy: 8
; WaveLimiterHint : 0
; COMPUTE_PGM_RSRC2:SCRATCH_EN: 0
; COMPUTE_PGM_RSRC2:USER_SGPR: 6
; COMPUTE_PGM_RSRC2:TRAP_HANDLER: 0
; COMPUTE_PGM_RSRC2:TGID_X_EN: 1
; COMPUTE_PGM_RSRC2:TGID_Y_EN: 1
; COMPUTE_PGM_RSRC2:TGID_Z_EN: 1
; COMPUTE_PGM_RSRC2:TIDIG_COMP_CNT: 0
; COMPUTE_PGM_RSRC3_GFX90A:ACCUM_OFFSET: 4
; COMPUTE_PGM_RSRC3_GFX90A:TG_SPLIT: 0
	.section	.text._ZL33flash_attn_stream_k_fixup_generalILi128ELi1ELi8EEvPfPK15HIP_vector_typeIfLj2EEiiiiS1_IjLj3EES5_S5_S5_,"axG",@progbits,_ZL33flash_attn_stream_k_fixup_generalILi128ELi1ELi8EEvPfPK15HIP_vector_typeIfLj2EEiiiiS1_IjLj3EES5_S5_S5_,comdat
	.globl	_ZL33flash_attn_stream_k_fixup_generalILi128ELi1ELi8EEvPfPK15HIP_vector_typeIfLj2EEiiiiS1_IjLj3EES5_S5_S5_ ; -- Begin function _ZL33flash_attn_stream_k_fixup_generalILi128ELi1ELi8EEvPfPK15HIP_vector_typeIfLj2EEiiiiS1_IjLj3EES5_S5_S5_
	.p2align	8
	.type	_ZL33flash_attn_stream_k_fixup_generalILi128ELi1ELi8EEvPfPK15HIP_vector_typeIfLj2EEiiiiS1_IjLj3EES5_S5_S5_,@function
_ZL33flash_attn_stream_k_fixup_generalILi128ELi1ELi8EEvPfPK15HIP_vector_typeIfLj2EEiiiiS1_IjLj3EES5_S5_S5_: ; @_ZL33flash_attn_stream_k_fixup_generalILi128ELi1ELi8EEvPfPK15HIP_vector_typeIfLj2EEiiiiS1_IjLj3EES5_S5_S5_
; %bb.0:
	s_load_dwordx4 s[12:15], s[4:5], 0x10
	s_load_dword s9, s[4:5], 0x50
	s_mov_b32 s2, 0
	s_waitcnt lgkmcnt(0)
	s_mul_hi_i32 s3, s15, s6
	s_cmp_lg_u64 s[2:3], 0
	s_mul_i32 s2, s15, s6
	s_cbranch_scc0 .LBB18_21
; %bb.1:
	v_cvt_f32_u32_e32 v1, s9
	v_cvt_f32_ubyte0_e32 v2, 0
	s_sub_u32 s10, 0, s9
	s_subb_u32 s11, 0, 0
	v_madmk_f32 v1, v2, 0x4f800000, v1
	v_rcp_f32_e32 v1, v1
	v_mul_f32_e32 v1, 0x5f7ffffc, v1
	v_mul_f32_e32 v2, 0x2f800000, v1
	v_trunc_f32_e32 v2, v2
	v_madmk_f32 v1, v2, 0xcf800000, v1
	v_cvt_u32_f32_e32 v2, v2
	v_cvt_u32_f32_e32 v1, v1
	v_readfirstlane_b32 s16, v2
	v_readfirstlane_b32 s17, v1
	s_mul_i32 s18, s10, s16
	s_mul_hi_u32 s20, s10, s17
	s_mul_i32 s19, s11, s17
	s_add_i32 s18, s20, s18
	s_add_i32 s18, s18, s19
	s_mul_i32 s21, s10, s17
	s_mul_hi_u32 s19, s17, s18
	s_mul_i32 s20, s17, s18
	s_mul_hi_u32 s17, s17, s21
	s_add_u32 s17, s17, s20
	s_addc_u32 s19, 0, s19
	s_mul_hi_u32 s22, s16, s21
	s_mul_i32 s21, s16, s21
	s_add_u32 s17, s17, s21
	s_mul_hi_u32 s20, s16, s18
	s_addc_u32 s17, s19, s22
	s_addc_u32 s19, s20, 0
	s_mul_i32 s18, s16, s18
	s_add_u32 s17, s17, s18
	s_addc_u32 s18, 0, s19
	v_add_co_u32_e32 v1, vcc, s17, v1
	s_cmp_lg_u64 vcc, 0
	s_addc_u32 s16, s16, s18
	v_readfirstlane_b32 s18, v1
	s_mul_i32 s17, s10, s16
	s_mul_hi_u32 s19, s10, s18
	s_add_i32 s17, s19, s17
	s_mul_i32 s11, s11, s18
	s_add_i32 s17, s17, s11
	s_mul_i32 s10, s10, s18
	s_mul_hi_u32 s19, s16, s10
	s_mul_i32 s20, s16, s10
	s_mul_i32 s22, s18, s17
	s_mul_hi_u32 s10, s18, s10
	s_mul_hi_u32 s21, s18, s17
	s_add_u32 s10, s10, s22
	s_addc_u32 s18, 0, s21
	s_add_u32 s10, s10, s20
	s_mul_hi_u32 s11, s16, s17
	s_addc_u32 s10, s18, s19
	s_addc_u32 s11, s11, 0
	s_mul_i32 s17, s16, s17
	s_add_u32 s10, s10, s17
	s_addc_u32 s11, 0, s11
	v_add_co_u32_e32 v1, vcc, s10, v1
	s_cmp_lg_u64 vcc, 0
	s_addc_u32 s18, s16, s11
	s_ashr_i32 s10, s3, 31
	s_add_u32 s16, s2, s10
	s_mov_b32 s11, s10
	s_addc_u32 s17, s3, s10
	s_xor_b64 s[16:17], s[16:17], s[10:11]
	v_readfirstlane_b32 s20, v1
	s_mul_i32 s19, s16, s18
	s_mul_hi_u32 s21, s16, s20
	s_mul_hi_u32 s3, s16, s18
	s_add_u32 s19, s21, s19
	s_addc_u32 s3, 0, s3
	s_mul_hi_u32 s22, s17, s20
	s_mul_i32 s20, s17, s20
	s_add_u32 s19, s19, s20
	s_mul_hi_u32 s21, s17, s18
	s_addc_u32 s3, s3, s22
	s_addc_u32 s19, s21, 0
	s_mul_i32 s18, s17, s18
	s_add_u32 s3, s3, s18
	s_addc_u32 s18, 0, s19
	s_add_u32 s19, s3, 1
	s_addc_u32 s20, s18, 0
	s_add_u32 s21, s3, 2
	s_mul_i32 s23, s9, s18
	s_mul_hi_u32 s24, s9, s3
	s_addc_u32 s22, s18, 0
	s_add_i32 s24, s24, s23
	s_mul_i32 s23, s9, s3
	v_mov_b32_e32 v1, s23
	v_sub_co_u32_e32 v1, vcc, s16, v1
	s_cmp_lg_u64 vcc, 0
	s_subb_u32 s16, s17, s24
	v_subrev_co_u32_e32 v2, vcc, s9, v1
	s_cmp_lg_u64 vcc, 0
	s_subb_u32 s17, s16, 0
	v_readfirstlane_b32 s23, v2
	s_cmp_ge_u32 s23, s9
	s_cselect_b32 s23, -1, 0
	s_cmp_eq_u32 s17, 0
	s_cselect_b32 s17, s23, -1
	s_cmp_lg_u32 s17, 0
	s_cselect_b32 s17, s22, s20
	v_readfirstlane_b32 s20, v1
	s_cselect_b32 s19, s21, s19
	s_cmp_ge_u32 s20, s9
	s_cselect_b32 s20, -1, 0
	s_cmp_eq_u32 s16, 0
	s_cselect_b32 s16, s20, -1
	s_cmp_lg_u32 s16, 0
	s_cselect_b32 s17, s17, s18
	s_cselect_b32 s16, s19, s3
	s_xor_b64 s[16:17], s[16:17], s[10:11]
	s_sub_u32 s20, s16, s10
	s_load_dwordx4 s[16:19], s[4:5], 0x44
	s_cbranch_execnz .LBB18_3
.LBB18_2:
	v_cvt_f32_u32_e32 v1, s9
	s_sub_i32 s0, 0, s9
	v_rcp_iflag_f32_e32 v1, v1
	v_mul_f32_e32 v1, 0x4f7ffffe, v1
	v_cvt_u32_f32_e32 v1, v1
	v_readfirstlane_b32 s1, v1
	s_mul_i32 s0, s0, s1
	s_mul_hi_u32 s0, s1, s0
	s_add_i32 s1, s1, s0
	s_mul_hi_u32 s0, s2, s1
	s_mul_i32 s3, s0, s9
	s_sub_i32 s2, s2, s3
	s_add_i32 s1, s0, 1
	s_sub_i32 s3, s2, s9
	s_cmp_ge_u32 s2, s9
	s_cselect_b32 s0, s1, s0
	s_cselect_b32 s2, s3, s2
	s_add_i32 s1, s0, 1
	s_cmp_ge_u32 s2, s9
	s_cselect_b32 s20, s1, s0
.LBB18_3:
	s_add_i32 s0, s6, 1
	s_mul_hi_i32 s3, s15, s0
	s_mov_b32 s2, 0
	s_cmp_lg_u64 s[2:3], 0
	s_mul_i32 s2, s15, s0
	s_cbranch_scc0 .LBB18_22
; %bb.4:
	v_cvt_f32_u32_e32 v1, s9
	v_cvt_f32_ubyte0_e32 v2, 0
	s_sub_u32 s10, 0, s9
	s_subb_u32 s11, 0, 0
	v_madmk_f32 v1, v2, 0x4f800000, v1
	v_rcp_f32_e32 v1, v1
	v_mul_f32_e32 v1, 0x5f7ffffc, v1
	v_mul_f32_e32 v2, 0x2f800000, v1
	v_trunc_f32_e32 v2, v2
	v_madmk_f32 v1, v2, 0xcf800000, v1
	v_cvt_u32_f32_e32 v2, v2
	v_cvt_u32_f32_e32 v1, v1
	s_waitcnt lgkmcnt(0)
	v_readfirstlane_b32 s19, v2
	v_readfirstlane_b32 s21, v1
	s_mul_i32 s22, s10, s19
	s_mul_hi_u32 s24, s10, s21
	s_mul_i32 s23, s11, s21
	s_add_i32 s22, s24, s22
	s_add_i32 s22, s22, s23
	s_mul_i32 s25, s10, s21
	s_mul_hi_u32 s23, s21, s22
	s_mul_i32 s24, s21, s22
	s_mul_hi_u32 s21, s21, s25
	s_add_u32 s21, s21, s24
	s_addc_u32 s23, 0, s23
	s_mul_hi_u32 s26, s19, s25
	s_mul_i32 s25, s19, s25
	s_add_u32 s21, s21, s25
	s_mul_hi_u32 s24, s19, s22
	s_addc_u32 s21, s23, s26
	s_addc_u32 s23, s24, 0
	s_mul_i32 s22, s19, s22
	s_add_u32 s21, s21, s22
	s_addc_u32 s22, 0, s23
	v_add_co_u32_e32 v1, vcc, s21, v1
	s_cmp_lg_u64 vcc, 0
	s_addc_u32 s19, s19, s22
	v_readfirstlane_b32 s22, v1
	s_mul_i32 s21, s10, s19
	s_mul_hi_u32 s23, s10, s22
	s_add_i32 s21, s23, s21
	s_mul_i32 s11, s11, s22
	s_add_i32 s21, s21, s11
	s_mul_i32 s10, s10, s22
	s_mul_hi_u32 s23, s19, s10
	s_mul_i32 s24, s19, s10
	s_mul_i32 s26, s22, s21
	s_mul_hi_u32 s10, s22, s10
	s_mul_hi_u32 s25, s22, s21
	s_add_u32 s10, s10, s26
	s_addc_u32 s22, 0, s25
	s_add_u32 s10, s10, s24
	s_mul_hi_u32 s11, s19, s21
	s_addc_u32 s10, s22, s23
	s_addc_u32 s11, s11, 0
	s_mul_i32 s21, s19, s21
	s_add_u32 s10, s10, s21
	s_addc_u32 s11, 0, s11
	v_add_co_u32_e32 v1, vcc, s10, v1
	s_cmp_lg_u64 vcc, 0
	s_addc_u32 s19, s19, s11
	s_ashr_i32 s10, s3, 31
	s_add_u32 s22, s2, s10
	s_mov_b32 s11, s10
	s_addc_u32 s23, s3, s10
	s_xor_b64 s[22:23], s[22:23], s[10:11]
	v_readfirstlane_b32 s21, v1
	s_mul_i32 s11, s22, s19
	s_mul_hi_u32 s24, s22, s21
	s_mul_hi_u32 s3, s22, s19
	s_add_u32 s11, s24, s11
	s_addc_u32 s3, 0, s3
	s_mul_hi_u32 s25, s23, s21
	s_mul_i32 s21, s23, s21
	s_add_u32 s11, s11, s21
	s_mul_hi_u32 s24, s23, s19
	s_addc_u32 s3, s3, s25
	s_addc_u32 s11, s24, 0
	s_mul_i32 s19, s23, s19
	s_add_u32 s3, s3, s19
	s_addc_u32 s11, 0, s11
	s_mul_i32 s11, s9, s11
	s_mul_hi_u32 s24, s9, s3
	s_add_i32 s24, s24, s11
	s_mul_i32 s11, s9, s3
	v_mov_b32_e32 v1, s11
	s_add_u32 s19, s3, 1
	s_add_u32 s21, s3, 2
	v_sub_co_u32_e32 v1, vcc, s22, v1
	s_cmp_lg_u64 vcc, 0
	s_subb_u32 s11, s23, s24
	v_subrev_co_u32_e32 v2, vcc, s9, v1
	s_cmp_lg_u64 vcc, 0
	s_subb_u32 s22, s11, 0
	v_cmp_le_u32_e32 vcc, s9, v2
	s_cmp_eq_u32 s22, 0
	v_cndmask_b32_e64 v2, 0, -1, vcc
	s_cselect_b64 vcc, -1, 0
	v_cndmask_b32_e32 v2, -1, v2, vcc
	v_mov_b32_e32 v3, s19
	v_mov_b32_e32 v4, s21
	v_cmp_ne_u32_e32 vcc, 0, v2
	v_cndmask_b32_e32 v2, v3, v4, vcc
	v_cmp_le_u32_e32 vcc, s9, v1
	s_cmp_eq_u32 s11, 0
	v_cndmask_b32_e64 v1, 0, -1, vcc
	s_cselect_b64 vcc, -1, 0
	v_cndmask_b32_e32 v1, -1, v1, vcc
	v_mov_b32_e32 v3, s3
	v_cmp_ne_u32_e32 vcc, 0, v1
	v_cndmask_b32_e32 v1, v3, v2, vcc
	v_xor_b32_e32 v1, s10, v1
	v_subrev_co_u32_e32 v2, vcc, s10, v1
	s_cbranch_execnz .LBB18_6
.LBB18_5:
	v_cvt_f32_u32_e32 v1, s9
	s_sub_i32 s0, 0, s9
	s_mov_b32 s1, 0
	v_rcp_iflag_f32_e32 v1, v1
	v_mul_f32_e32 v1, 0x4f7ffffe, v1
	v_cvt_u32_f32_e32 v1, v1
	v_readfirstlane_b32 s3, v1
	s_mul_i32 s0, s0, s3
	s_mul_hi_u32 s0, s3, s0
	s_add_i32 s3, s3, s0
	s_mul_hi_u32 s0, s2, s3
	s_mul_i32 s10, s0, s9
	s_sub_i32 s2, s2, s10
	s_add_i32 s3, s0, 1
	s_sub_i32 s10, s2, s9
	s_cmp_ge_u32 s2, s9
	s_cselect_b32 s0, s3, s0
	s_cselect_b32 s2, s10, s2
	s_add_i32 s3, s0, 1
	s_cmp_ge_u32 s2, s9
	s_cselect_b32 s0, s3, s0
	v_pk_mov_b32 v[2:3], s[0:1], s[0:1] op_sel:[0,1]
.LBB18_6:
	s_waitcnt lgkmcnt(0)
	s_mul_hi_u32 s0, s20, s16
	s_add_i32 s0, s0, s20
	v_mul_hi_u32 v1, v2, s16
	s_lshr_b32 s19, s0, s17
	v_add_u32_e32 v1, v1, v2
	s_mul_i32 s0, s19, s18
	v_lshrrev_b32_e32 v1, s17, v1
	s_cmp_eq_u32 s0, s20
	v_cmp_eq_u32_e64 s[0:1], s19, v1
	v_mul_lo_u32 v1, v1, s18
	v_cmp_eq_u32_e32 vcc, s20, v2
	s_cselect_b64 s[10:11], -1, 0
	v_cmp_ne_u32_e64 s[2:3], v1, v2
	s_and_b64 s[0:1], s[0:1], s[2:3]
	s_or_b64 s[2:3], vcc, s[10:11]
	s_or_b64 s[0:1], s[2:3], s[0:1]
	s_and_b64 vcc, exec, s[0:1]
	s_cbranch_vccnz .LBB18_24
; %bb.7:
	s_load_dwordx8 s[24:31], s[4:5], 0x20
	s_load_dword s0, s[4:5], 0x40
	s_mov_b32 s10, 0
	s_waitcnt lgkmcnt(0)
	s_mul_hi_u32 s1, s20, s24
	s_add_i32 s1, s1, s20
	s_lshr_b32 s11, s1, s25
	s_mul_i32 s1, s11, s26
	s_sub_i32 s1, s20, s1
	s_mul_hi_u32 s2, s1, s27
	s_add_i32 s2, s1, s2
	s_lshr_b32 s21, s2, s28
	s_mul_i32 s2, s21, s29
	s_sub_i32 s1, s1, s2
	;; [unrolled: 5-line block ×3, first 2 shown]
	s_mul_hi_u32 s1, s0, s16
	s_add_i32 s0, s0, s1
	s_lshr_b32 s22, s0, s17
	s_lshl_b32 s23, s2, 3
	s_add_i32 s22, s22, s7
	s_cmp_lt_i32 s22, s12
	s_cselect_b64 s[0:1], -1, 0
	s_add_i32 s23, s23, s8
	s_cmp_lt_i32 s23, s14
	s_cselect_b64 s[2:3], -1, 0
	s_and_b64 s[0:1], s[0:1], s[2:3]
	s_andn2_b64 vcc, exec, s[0:1]
	s_cbranch_vccnz .LBB18_24
; %bb.8:
	s_load_dwordx4 s[0:3], s[4:5], 0x0
	s_lshl_b32 s4, s9, 5
	s_mov_b32 s5, s10
	s_lshl_b64 s[4:5], s[4:5], 2
	s_mul_i32 s24, s21, s14
	s_waitcnt lgkmcnt(0)
	s_add_u32 s14, s2, s4
	s_mul_i32 s11, s11, s12
	s_addc_u32 s21, s3, s5
	s_add_i32 s4, s22, s11
	s_mul_i32 s4, s4, s13
	s_add_i32 s5, s23, s24
	s_add_i32 s5, s5, s4
	v_lshl_or_b32 v2, s5, 7, v0
	v_ashrrev_i32_e32 v3, 31, v2
	v_lshlrev_b64 v[2:3], 2, v[2:3]
	v_mov_b32_e32 v1, s1
	v_add_co_u32_e32 v2, vcc, s0, v2
	v_addc_co_u32_e32 v3, vcc, v1, v3, vcc
	global_load_dword v5, v[2:3], off
	v_lshl_or_b32 v4, s8, 7, v0
	v_cvt_f32_u32_e32 v0, s9
	v_cvt_f32_ubyte0_e32 v1, 0
	s_add_i32 s0, s7, s6
	s_lshl_b32 s0, s0, 3
	v_mac_f32_e32 v0, 0x4f800000, v1
	v_rcp_f32_e32 v0, v0
	v_cvt_f32_u32_e32 v1, s9
	s_add_i32 s0, s0, s8
	s_ashr_i32 s1, s0, 31
	s_lshl_b64 s[0:1], s[0:1], 3
	v_mul_f32_e32 v0, 0x5f7ffffc, v0
	v_rcp_iflag_f32_e32 v1, v1
	s_add_u32 s0, s2, s0
	v_mul_f32_e32 v9, 0x2f800000, v0
	s_addc_u32 s1, s3, s1
	v_trunc_f32_e32 v10, v9
	s_load_dwordx2 s[0:1], s[0:1], 0x0
	v_mac_f32_e32 v0, 0xcf800000, v10
	v_cvt_u32_f32_e32 v9, v0
	v_mul_f32_e32 v0, 0x4f7ffffe, v1
	v_cvt_u32_f32_e32 v10, v10
	v_cvt_u32_f32_e32 v11, v0
	s_add_i32 s13, s6, -1
	s_waitcnt lgkmcnt(0)
	v_mov_b32_e32 v6, s1
	v_mov_b32_e32 v7, s0
	v_mov_b32_e32 v8, s20
	s_mov_b32 s6, 0x3fb8aa3b
	s_mov_b32 s12, 0xc2ce8ed0
	;; [unrolled: 1-line block ×4, first 2 shown]
	v_mov_b32_e32 v12, 0x7f800000
	s_mul_hi_i32 s11, s13, s15
	s_cmp_lg_u64 s[10:11], 0
	s_mul_i32 s4, s13, s15
	s_cbranch_scc0 .LBB18_15
.LBB18_9:
	s_sub_u32 s0, 0, s9
	v_readfirstlane_b32 s5, v9
	v_readfirstlane_b32 s25, v10
	s_subb_u32 s1, 0, 0
	s_mul_hi_u32 s24, s0, s5
	s_mul_i32 s26, s0, s25
	s_mul_i32 s23, s1, s5
	s_add_i32 s24, s24, s26
	s_add_i32 s24, s24, s23
	s_mul_i32 s27, s0, s5
	s_mul_hi_u32 s23, s5, s24
	s_mul_i32 s26, s5, s24
	s_mul_hi_u32 s5, s5, s27
	s_add_u32 s5, s5, s26
	s_addc_u32 s23, 0, s23
	s_mul_hi_u32 s28, s25, s27
	s_mul_i32 s27, s25, s27
	s_add_u32 s5, s5, s27
	s_mul_hi_u32 s26, s25, s24
	s_addc_u32 s5, s23, s28
	s_addc_u32 s23, s26, 0
	s_mul_i32 s24, s25, s24
	s_add_u32 s5, s5, s24
	s_addc_u32 s23, 0, s23
	v_add_co_u32_e32 v0, vcc, s5, v9
	s_cmp_lg_u64 vcc, 0
	s_addc_u32 s5, s25, s23
	v_readfirstlane_b32 s24, v0
	s_mul_i32 s23, s0, s5
	s_mul_hi_u32 s25, s0, s24
	s_add_i32 s23, s25, s23
	s_mul_i32 s1, s1, s24
	s_add_i32 s23, s23, s1
	s_mul_i32 s0, s0, s24
	s_mul_hi_u32 s25, s5, s0
	s_mul_i32 s26, s5, s0
	s_mul_i32 s28, s24, s23
	s_mul_hi_u32 s0, s24, s0
	s_mul_hi_u32 s27, s24, s23
	s_add_u32 s0, s0, s28
	s_addc_u32 s24, 0, s27
	s_add_u32 s0, s0, s26
	s_mul_hi_u32 s1, s5, s23
	s_addc_u32 s0, s24, s25
	s_addc_u32 s1, s1, 0
	s_mul_i32 s23, s5, s23
	s_add_u32 s0, s0, s23
	s_addc_u32 s1, 0, s1
	v_add_co_u32_e32 v0, vcc, s0, v0
	s_cmp_lg_u64 vcc, 0
	s_addc_u32 s5, s5, s1
	s_ashr_i32 s0, s11, 31
	s_add_u32 s24, s4, s0
	s_mov_b32 s1, s0
	s_addc_u32 s25, s11, s0
	s_xor_b64 s[24:25], s[24:25], s[0:1]
	v_readfirstlane_b32 s23, v0
	s_mul_i32 s11, s24, s5
	s_mul_hi_u32 s26, s24, s23
	s_mul_hi_u32 s1, s24, s5
	s_add_u32 s11, s26, s11
	s_addc_u32 s1, 0, s1
	s_mul_hi_u32 s27, s25, s23
	s_mul_i32 s23, s25, s23
	s_add_u32 s11, s11, s23
	s_mul_hi_u32 s26, s25, s5
	s_addc_u32 s1, s1, s27
	s_addc_u32 s11, s26, 0
	s_mul_i32 s5, s25, s5
	s_add_u32 s1, s1, s5
	s_addc_u32 s5, 0, s11
	s_mul_i32 s5, s9, s5
	s_mul_hi_u32 s26, s9, s1
	s_add_i32 s26, s26, s5
	s_mul_i32 s5, s9, s1
	v_mov_b32_e32 v0, s5
	s_add_u32 s11, s1, 1
	s_add_u32 s23, s1, 2
	v_sub_co_u32_e32 v0, vcc, s24, v0
	s_cmp_lg_u64 vcc, 0
	s_subb_u32 s5, s25, s26
	v_subrev_co_u32_e32 v1, vcc, s9, v0
	s_cmp_lg_u64 vcc, 0
	s_subb_u32 s24, s5, 0
	v_cmp_le_u32_e32 vcc, s9, v1
	s_cmp_eq_u32 s24, 0
	v_cndmask_b32_e64 v1, 0, -1, vcc
	s_cselect_b64 vcc, -1, 0
	v_cndmask_b32_e32 v1, -1, v1, vcc
	v_mov_b32_e32 v13, s11
	v_mov_b32_e32 v14, s23
	v_cmp_ne_u32_e32 vcc, 0, v1
	v_cndmask_b32_e32 v1, v13, v14, vcc
	v_cmp_le_u32_e32 vcc, s9, v0
	s_cmp_eq_u32 s5, 0
	v_cndmask_b32_e64 v0, 0, -1, vcc
	s_cselect_b64 vcc, -1, 0
	v_cndmask_b32_e32 v0, -1, v0, vcc
	v_mov_b32_e32 v13, s1
	v_cmp_ne_u32_e32 vcc, 0, v0
	v_cndmask_b32_e32 v0, v13, v1, vcc
	v_xor_b32_e32 v0, s0, v0
	v_subrev_co_u32_e32 v0, vcc, s0, v0
	s_cbranch_execnz .LBB18_11
.LBB18_10:
	s_sub_i32 s0, 0, s9
	v_mul_lo_u32 v0, s0, v11
	v_mul_hi_u32 v0, v11, v0
	v_add_u32_e32 v0, v11, v0
	v_mul_hi_u32 v0, s4, v0
	v_mul_lo_u32 v13, v0, s9
	v_sub_u32_e32 v13, s4, v13
	v_add_u32_e32 v1, 1, v0
	v_subrev_u32_e32 v14, s9, v13
	v_cmp_le_u32_e32 vcc, s9, v13
	v_cndmask_b32_e32 v13, v13, v14, vcc
	v_cndmask_b32_e32 v0, v0, v1, vcc
	v_add_u32_e32 v1, 1, v0
	v_cmp_le_u32_e32 vcc, s9, v13
	v_cndmask_b32_e32 v0, v0, v1, vcc
.LBB18_11:
	v_cmp_ne_u32_e32 vcc, v8, v0
	s_cbranch_vccz .LBB18_14
; %bb.12:
	s_add_i32 s23, s13, s7
	s_add_i32 s0, s23, s9
	s_lshl_b32 s0, s0, 3
	v_mul_hi_u32 v1, v0, s16
	s_add_i32 s0, s0, s8
	s_mov_b32 s1, s10
	v_add_u32_e32 v1, v1, v0
	s_lshl_b64 s[0:1], s[0:1], 3
	v_lshrrev_b32_e32 v1, s17, v1
	s_add_u32 s4, s2, s0
	v_mul_lo_u32 v13, v1, s18
	s_addc_u32 s5, s3, s1
	v_cmp_eq_u32_e32 vcc, v13, v0
	v_cmp_gt_u32_e64 s[0:1], s19, v1
	s_or_b64 s[0:1], s[0:1], vcc
	s_and_b64 vcc, exec, s[0:1]
	s_cbranch_vccnz .LBB18_16
; %bb.13:
	s_add_i32 s11, s13, -1
	s_mov_b64 s[0:1], 0
	s_branch .LBB18_17
.LBB18_14:
                                        ; implicit-def: $sgpr0_sgpr1
                                        ; implicit-def: $vgpr14
                                        ; implicit-def: $vgpr1
                                        ; implicit-def: $vgpr13
                                        ; implicit-def: $sgpr11
                                        ; implicit-def: $vgpr0
	s_branch .LBB18_18
.LBB18_15:
                                        ; implicit-def: $vgpr0_vgpr1
	s_branch .LBB18_10
.LBB18_16:
	s_mov_b64 s[0:1], -1
	s_mov_b32 s11, s13
	v_mov_b32_e32 v0, v8
.LBB18_17:
	v_lshl_add_u32 v14, s23, 10, v4
	v_ashrrev_i32_e32 v15, 31, v14
	v_lshlrev_b64 v[14:15], 2, v[14:15]
	v_mov_b32_e32 v1, s21
	v_add_co_u32_e32 v14, vcc, s14, v14
	v_addc_co_u32_e32 v15, vcc, v1, v15, vcc
	global_load_dword v14, v[14:15], off
	s_load_dwordx2 s[4:5], s[4:5], 0x0
	v_max_f32_e32 v1, v7, v7
	s_waitcnt lgkmcnt(0)
	v_max_f32_e64 v13, s4, s4
	v_max_f32_e32 v1, v1, v13
	v_sub_f32_e32 v13, v7, v1
	v_sub_f32_e32 v15, s4, v1
	v_mul_f32_e32 v16, 0x3fb8aa3b, v13
	v_mul_f32_e32 v17, 0x3fb8aa3b, v15
	v_fma_f32 v18, v13, s6, -v16
	v_rndne_f32_e32 v19, v16
	v_fma_f32 v20, v15, s6, -v17
	v_rndne_f32_e32 v21, v17
	v_fmac_f32_e32 v18, 0x32a5705f, v13
	v_sub_f32_e32 v16, v16, v19
	v_fmac_f32_e32 v20, 0x32a5705f, v15
	v_sub_f32_e32 v17, v17, v21
	v_add_f32_e32 v16, v16, v18
	v_cvt_i32_f32_e32 v19, v19
	v_add_f32_e32 v17, v17, v20
	v_exp_f32_e32 v16, v16
	v_cvt_i32_f32_e32 v21, v21
	v_exp_f32_e32 v17, v17
	v_cmp_ngt_f32_e32 vcc, s12, v13
	v_ldexp_f32 v16, v16, v19
	v_cndmask_b32_e32 v16, 0, v16, vcc
	v_ldexp_f32 v17, v17, v21
	v_cmp_ngt_f32_e32 vcc, s12, v15
	v_cndmask_b32_e32 v17, 0, v17, vcc
	v_cmp_nlt_f32_e32 vcc, s20, v13
	v_cndmask_b32_e32 v16, v12, v16, vcc
	v_cmp_nlt_f32_e32 vcc, s20, v15
	v_cndmask_b32_e32 v17, v12, v17, vcc
	v_cmp_le_f32_e32 vcc, s22, v13
	v_cndmask_b32_e32 v16, 0, v16, vcc
	v_cmp_le_f32_e32 vcc, s22, v15
	v_cndmask_b32_e32 v15, 0, v17, vcc
	v_mul_f32_e32 v13, s5, v15
	v_fmac_f32_e32 v13, v6, v16
	s_waitcnt vmcnt(0)
	v_mul_f32_e32 v14, v14, v15
	v_fmac_f32_e32 v14, v5, v16
	s_cbranch_execnz .LBB18_19
.LBB18_18:
	s_add_i32 s11, s13, -1
	s_mov_b64 s[0:1], 0
	v_mov_b32_e32 v0, v8
	v_mov_b32_e32 v13, v6
	;; [unrolled: 1-line block ×3, first 2 shown]
	s_waitcnt vmcnt(0)
	v_mov_b32_e32 v14, v5
.LBB18_19:
	s_andn2_b64 vcc, exec, s[0:1]
	s_cbranch_vccz .LBB18_23
; %bb.20:
	v_mov_b32_e32 v8, v0
	s_mov_b32 s13, s11
	v_mov_b32_e32 v6, v13
	v_mov_b32_e32 v7, v1
	s_waitcnt vmcnt(0)
	v_mov_b32_e32 v5, v14
	s_mul_hi_i32 s11, s13, s15
	s_cmp_lg_u64 s[10:11], 0
	s_mul_i32 s4, s13, s15
	s_cbranch_scc1 .LBB18_9
	s_branch .LBB18_15
.LBB18_21:
                                        ; implicit-def: $sgpr20_sgpr21
	s_load_dwordx4 s[16:19], s[4:5], 0x44
	s_branch .LBB18_2
.LBB18_22:
                                        ; implicit-def: $vgpr2_vgpr3
	s_branch .LBB18_5
.LBB18_23:
	v_div_scale_f32 v0, s[0:1], v13, v13, v14
	v_rcp_f32_e32 v1, v0
	v_div_scale_f32 v4, vcc, v14, v13, v14
	s_waitcnt vmcnt(0)
	v_fma_f32 v5, -v0, v1, 1.0
	v_fmac_f32_e32 v1, v5, v1
	v_mul_f32_e32 v5, v4, v1
	v_fma_f32 v6, -v0, v5, v4
	v_fmac_f32_e32 v5, v6, v1
	v_fma_f32 v0, -v0, v5, v4
	v_div_fmas_f32 v0, v0, v1, v5
	v_div_fixup_f32 v0, v0, v13, v14
	global_store_dword v[2:3], v0, off
.LBB18_24:
	s_endpgm
	.section	.rodata,"a",@progbits
	.p2align	6, 0x0
	.amdhsa_kernel _ZL33flash_attn_stream_k_fixup_generalILi128ELi1ELi8EEvPfPK15HIP_vector_typeIfLj2EEiiiiS1_IjLj3EES5_S5_S5_
		.amdhsa_group_segment_fixed_size 0
		.amdhsa_private_segment_fixed_size 0
		.amdhsa_kernarg_size 336
		.amdhsa_user_sgpr_count 6
		.amdhsa_user_sgpr_private_segment_buffer 1
		.amdhsa_user_sgpr_dispatch_ptr 0
		.amdhsa_user_sgpr_queue_ptr 0
		.amdhsa_user_sgpr_kernarg_segment_ptr 1
		.amdhsa_user_sgpr_dispatch_id 0
		.amdhsa_user_sgpr_flat_scratch_init 0
		.amdhsa_user_sgpr_kernarg_preload_length 0
		.amdhsa_user_sgpr_kernarg_preload_offset 0
		.amdhsa_user_sgpr_private_segment_size 0
		.amdhsa_uses_dynamic_stack 0
		.amdhsa_system_sgpr_private_segment_wavefront_offset 0
		.amdhsa_system_sgpr_workgroup_id_x 1
		.amdhsa_system_sgpr_workgroup_id_y 1
		.amdhsa_system_sgpr_workgroup_id_z 1
		.amdhsa_system_sgpr_workgroup_info 0
		.amdhsa_system_vgpr_workitem_id 0
		.amdhsa_next_free_vgpr 22
		.amdhsa_next_free_sgpr 32
		.amdhsa_accum_offset 24
		.amdhsa_reserve_vcc 1
		.amdhsa_reserve_flat_scratch 0
		.amdhsa_float_round_mode_32 0
		.amdhsa_float_round_mode_16_64 0
		.amdhsa_float_denorm_mode_32 3
		.amdhsa_float_denorm_mode_16_64 3
		.amdhsa_dx10_clamp 1
		.amdhsa_ieee_mode 1
		.amdhsa_fp16_overflow 0
		.amdhsa_tg_split 0
		.amdhsa_exception_fp_ieee_invalid_op 0
		.amdhsa_exception_fp_denorm_src 0
		.amdhsa_exception_fp_ieee_div_zero 0
		.amdhsa_exception_fp_ieee_overflow 0
		.amdhsa_exception_fp_ieee_underflow 0
		.amdhsa_exception_fp_ieee_inexact 0
		.amdhsa_exception_int_div_zero 0
	.end_amdhsa_kernel
	.section	.text._ZL33flash_attn_stream_k_fixup_generalILi128ELi1ELi8EEvPfPK15HIP_vector_typeIfLj2EEiiiiS1_IjLj3EES5_S5_S5_,"axG",@progbits,_ZL33flash_attn_stream_k_fixup_generalILi128ELi1ELi8EEvPfPK15HIP_vector_typeIfLj2EEiiiiS1_IjLj3EES5_S5_S5_,comdat
.Lfunc_end18:
	.size	_ZL33flash_attn_stream_k_fixup_generalILi128ELi1ELi8EEvPfPK15HIP_vector_typeIfLj2EEiiiiS1_IjLj3EES5_S5_S5_, .Lfunc_end18-_ZL33flash_attn_stream_k_fixup_generalILi128ELi1ELi8EEvPfPK15HIP_vector_typeIfLj2EEiiiiS1_IjLj3EES5_S5_S5_
                                        ; -- End function
	.section	.AMDGPU.csdata,"",@progbits
; Kernel info:
; codeLenInByte = 2804
; NumSgprs: 36
; NumVgprs: 22
; NumAgprs: 0
; TotalNumVgprs: 22
; ScratchSize: 0
; MemoryBound: 0
; FloatMode: 240
; IeeeMode: 1
; LDSByteSize: 0 bytes/workgroup (compile time only)
; SGPRBlocks: 4
; VGPRBlocks: 2
; NumSGPRsForWavesPerEU: 36
; NumVGPRsForWavesPerEU: 22
; AccumOffset: 24
; Occupancy: 8
; WaveLimiterHint : 0
; COMPUTE_PGM_RSRC2:SCRATCH_EN: 0
; COMPUTE_PGM_RSRC2:USER_SGPR: 6
; COMPUTE_PGM_RSRC2:TRAP_HANDLER: 0
; COMPUTE_PGM_RSRC2:TGID_X_EN: 1
; COMPUTE_PGM_RSRC2:TGID_Y_EN: 1
; COMPUTE_PGM_RSRC2:TGID_Z_EN: 1
; COMPUTE_PGM_RSRC2:TIDIG_COMP_CNT: 0
; COMPUTE_PGM_RSRC3_GFX90A:ACCUM_OFFSET: 5
; COMPUTE_PGM_RSRC3_GFX90A:TG_SPLIT: 0
	.section	.text._ZL15flash_attn_tileILi192ELi128ELi2ELi16ELb1EEvPKcS1_S1_S1_S1_PKiPfP15HIP_vector_typeIfLj2EEffffjfiS5_IjLj3EEiiiiiiiiiiiliiliiiiil,"axG",@progbits,_ZL15flash_attn_tileILi192ELi128ELi2ELi16ELb1EEvPKcS1_S1_S1_S1_PKiPfP15HIP_vector_typeIfLj2EEffffjfiS5_IjLj3EEiiiiiiiiiiiliiliiiiil,comdat
	.globl	_ZL15flash_attn_tileILi192ELi128ELi2ELi16ELb1EEvPKcS1_S1_S1_S1_PKiPfP15HIP_vector_typeIfLj2EEffffjfiS5_IjLj3EEiiiiiiiiiiiliiliiiiil ; -- Begin function _ZL15flash_attn_tileILi192ELi128ELi2ELi16ELb1EEvPKcS1_S1_S1_S1_PKiPfP15HIP_vector_typeIfLj2EEffffjfiS5_IjLj3EEiiiiiiiiiiiliiliiiiil
	.p2align	8
	.type	_ZL15flash_attn_tileILi192ELi128ELi2ELi16ELb1EEvPKcS1_S1_S1_S1_PKiPfP15HIP_vector_typeIfLj2EEffffjfiS5_IjLj3EEiiiiiiiiiiiliiliiiiil,@function
_ZL15flash_attn_tileILi192ELi128ELi2ELi16ELb1EEvPKcS1_S1_S1_S1_PKiPfP15HIP_vector_typeIfLj2EEffffjfiS5_IjLj3EEiiiiiiiiiiiliiliiiiil: ; @_ZL15flash_attn_tileILi192ELi128ELi2ELi16ELb1EEvPKcS1_S1_S1_S1_PKiPfP15HIP_vector_typeIfLj2EEffffjfiS5_IjLj3EEiiiiiiiiiiiliiliiiiil
; %bb.0:
	s_load_dwordx4 s[0:3], s[4:5], 0x5c
	s_load_dwordx2 s[28:29], s[4:5], 0x80
	s_load_dwordx2 s[34:35], s[4:5], 0xb8
	s_mov_b64 s[30:31], 0
	s_waitcnt lgkmcnt(0)
	s_ashr_i32 s9, s3, 31
	s_lshr_b32 s9, s9, 28
	s_add_i32 s9, s3, s9
	s_ashr_i32 s9, s9, 4
	v_cvt_f32_u32_e32 v1, s9
	s_sub_i32 s10, 0, s9
	v_rcp_iflag_f32_e32 v1, v1
	v_mul_f32_e32 v1, 0x4f7ffffe, v1
	v_cvt_u32_f32_e32 v1, v1
	v_readfirstlane_b32 s11, v1
	s_mul_i32 s10, s10, s11
	s_mul_hi_u32 s10, s11, s10
	s_add_i32 s11, s11, s10
	s_mul_hi_u32 s10, s8, s11
	s_mul_i32 s11, s10, s9
	s_sub_i32 s11, s8, s11
	s_add_i32 s12, s10, 1
	s_sub_i32 s13, s11, s9
	s_cmp_ge_u32 s11, s9
	s_cselect_b32 s10, s12, s10
	s_cselect_b32 s11, s13, s11
	s_add_i32 s12, s10, 1
	s_cmp_ge_u32 s11, s9
	s_cselect_b32 s33, s12, s10
	s_abs_i32 s9, s29
	v_cvt_f32_u32_e32 v1, s9
	s_lshl_b32 s8, s8, 4
	s_mul_i32 s12, s33, s3
	s_xor_b32 s10, s3, s29
	v_rcp_iflag_f32_e32 v1, v1
	s_sub_i32 s13, 0, s9
	s_sub_i32 s29, s8, s12
	s_abs_i32 s11, s3
	v_mul_f32_e32 v1, 0x4f7ffffe, v1
	v_cvt_u32_f32_e32 v1, v1
	s_ashr_i32 s10, s10, 31
	v_readfirstlane_b32 s8, v1
	s_mul_i32 s13, s13, s8
	s_mul_hi_u32 s12, s8, s13
	s_add_i32 s8, s8, s12
	s_mul_hi_u32 s8, s11, s8
	s_mul_i32 s12, s8, s9
	s_sub_i32 s11, s11, s12
	s_add_i32 s13, s8, 1
	s_sub_i32 s12, s11, s9
	s_cmp_ge_u32 s11, s9
	s_cselect_b32 s8, s13, s8
	s_cselect_b32 s11, s12, s11
	s_add_i32 s12, s8, 1
	s_cmp_ge_u32 s11, s9
	s_cselect_b32 s8, s12, s8
	s_xor_b32 s8, s8, s10
	s_sub_i32 s37, s8, s10
	s_abs_i32 s36, s37
	v_cvt_f32_u32_e32 v1, s36
	s_load_dwordx16 s[8:23], s[4:5], 0x0
	v_rcp_iflag_f32_e32 v1, v1
	s_waitcnt lgkmcnt(0)
	s_cmp_eq_u64 s[14:15], 0
	v_mul_f32_e32 v1, 0x4f7ffffe, v1
	v_cvt_u32_f32_e32 v1, v1
	v_readfirstlane_b32 s38, v1
	s_cbranch_scc1 .LBB19_2
; %bb.1:
	s_abs_i32 s26, s34
	v_cvt_f32_u32_e32 v1, s26
	s_sub_i32 s31, 0, s26
	s_abs_i32 s30, s33
	s_ashr_i32 s27, s33, 31
	v_rcp_iflag_f32_e32 v1, v1
	s_load_dwordx2 s[24:25], s[4:5], 0xc8
	v_mul_f32_e32 v1, 0x4f7ffffe, v1
	v_cvt_u32_f32_e32 v1, v1
	v_readfirstlane_b32 s34, v1
	s_mul_i32 s31, s31, s34
	s_mul_hi_u32 s31, s34, s31
	s_add_i32 s34, s34, s31
	s_mul_hi_u32 s31, s30, s34
	s_mul_i32 s31, s31, s26
	s_sub_i32 s30, s30, s31
	s_sub_i32 s31, s30, s26
	s_cmp_ge_u32 s30, s26
	s_cselect_b32 s30, s31, s30
	s_sub_i32 s31, s30, s26
	s_cmp_ge_u32 s30, s26
	s_cselect_b32 s26, s31, s30
	s_xor_b32 s26, s26, s27
	s_sub_i32 s26, s26, s27
	s_ashr_i32 s27, s26, 31
	s_waitcnt lgkmcnt(0)
	s_mul_i32 s25, s26, s25
	s_mul_hi_u32 s30, s26, s24
	s_add_i32 s25, s30, s25
	s_mul_i32 s27, s27, s24
	s_add_i32 s25, s25, s27
	s_mul_i32 s26, s26, s24
	s_add_u32 s30, s14, s26
	s_addc_u32 s31, s15, s25
.LBB19_2:
	s_load_dwordx4 s[24:27], s[4:5], 0x70
	v_bfe_u32 v29, v0, 10, 10
	v_lshrrev_b32_e32 v1, 2, v29
	v_lshl_add_u32 v5, s6, 1, v1
	v_and_b32_e32 v4, 0x3ff, v0
	s_waitcnt lgkmcnt(0)
	s_mul_i32 s14, s33, s26
	s_ashr_i32 s26, s14, 31
	v_mul_hi_u32 v0, s0, v5
	s_mul_i32 s15, s29, s25
	s_add_u32 s8, s8, s14
	v_add_u32_e32 v0, v5, v0
	s_addc_u32 s9, s9, s26
	s_ashr_i32 s14, s15, 31
	v_lshrrev_b32_e32 v0, s1, v0
	s_add_u32 s8, s8, s15
	v_mul_lo_u32 v0, v0, s2
	s_addc_u32 s9, s9, s14
	v_sub_u32_e32 v14, v5, v0
	s_ashr_i32 s14, s24, 31
	v_mov_b32_e32 v0, s24
	v_alignbit_b32 v0, s14, v0, 2
	v_mad_u64_u32 v[0:1], s[0:1], v0, v14, 0
	v_mov_b32_e32 v2, v1
	s_lshr_b32 s0, s14, 2
	v_mad_u64_u32 v[2:3], s[0:1], s0, v14, v[2:3]
	v_mov_b32_e32 v1, v2
	v_lshlrev_b64 v[0:1], 2, v[0:1]
	v_mov_b32_e32 v2, s9
	v_add_co_u32_e32 v0, vcc, s8, v0
	v_addc_co_u32_e32 v1, vcc, v2, v1, vcc
	v_lshlrev_b32_e32 v2, 4, v4
	v_lshlrev_b32_e32 v22, 2, v29
	s_ashr_i32 s15, s25, 31
	v_add_co_u32_e32 v2, vcc, v0, v2
	v_mov_b32_e32 v0, s25
	v_and_b32_e32 v7, 12, v22
	v_alignbit_b32 v0, s15, v0, 2
	v_addc_co_u32_e32 v3, vcc, 0, v1, vcc
	v_mad_u64_u32 v[0:1], s[0:1], v0, v7, 0
	v_mov_b32_e32 v6, v1
	s_lshr_b32 s0, s15, 2
	v_mad_u64_u32 v[8:9], s[0:1], s0, v7, v[6:7]
	v_mov_b32_e32 v1, v8
	v_lshlrev_b64 v[0:1], 2, v[0:1]
	v_add_co_u32_e32 v0, vcc, v2, v0
	v_addc_co_u32_e32 v1, vcc, v3, v1, vcc
	global_load_dwordx4 v[10:13], v[0:1], off
	s_load_dword s8, s[4:5], 0x40
	v_lshlrev_b32_e32 v6, 1, v4
	v_mul_u32_u24_e32 v8, 0x180, v29
	s_mov_b32 s14, s25
	v_add_lshl_u32 v8, v8, v6, 2
	s_waitcnt lgkmcnt(0)
	s_mov_b32 s9, s8
	s_lshr_b64 s[14:15], s[14:15], 2
	v_cmp_gt_u32_e32 vcc, 16, v4
	s_waitcnt vmcnt(0)
	v_pk_mul_f32 v[10:11], v[10:11], s[8:9] op_sel_hi:[1,0]
	v_pk_mul_f32 v[12:13], v[12:13], s[8:9] op_sel_hi:[1,0]
	v_cvt_f16_f32_e32 v9, v11
	v_cvt_f16_f32_e32 v11, v13
	;; [unrolled: 1-line block ×4, first 2 shown]
	v_pack_b32_f16 v11, v12, v11
	v_pack_b32_f16 v10, v10, v9
	ds_write_b64 v8, v[10:11]
	s_and_saveexec_b64 s[0:1], vcc
	s_cbranch_execz .LBB19_4
; %bb.3:
	global_load_dwordx4 v[10:13], v[0:1], off offset:512
	s_waitcnt vmcnt(0)
	v_pk_mul_f32 v[0:1], v[10:11], s[8:9]
	v_pk_mul_f32 v[10:11], v[12:13], s[8:9]
	v_cvt_f16_f32_e32 v1, v1
	v_cvt_f16_f32_e32 v0, v0
	;; [unrolled: 1-line block ×4, first 2 shown]
	v_pack_b32_f16 v0, v0, v1
	v_pack_b32_f16 v1, v10, v9
	ds_write_b64 v8, v[0:1] offset:256
.LBB19_4:
	s_or_b64 exec, exec, s[0:1]
	v_or_b32_e32 v12, 1, v22
	v_and_b32_e32 v9, 13, v12
	v_mad_u64_u32 v[0:1], s[0:1], s14, v9, 0
	v_mov_b32_e32 v8, v1
	v_mad_u64_u32 v[8:9], s[0:1], s15, v9, v[8:9]
	v_mov_b32_e32 v1, v8
	v_lshlrev_b64 v[0:1], 2, v[0:1]
	v_add_co_u32_e64 v0, s[0:1], v2, v0
	v_addc_co_u32_e64 v1, s[0:1], v3, v1, s[0:1]
	global_load_dwordx4 v[8:11], v[0:1], off
	s_waitcnt vmcnt(0)
	v_pk_mul_f32 v[8:9], v[8:9], s[8:9]
	v_pk_mul_f32 v[10:11], v[10:11], s[8:9]
	v_cvt_f16_f32_e32 v13, v9
	v_cvt_f16_f32_e32 v9, v11
	;; [unrolled: 1-line block ×4, first 2 shown]
	v_mul_u32_u24_e32 v11, 0x60, v12
	v_add_lshl_u32 v6, v11, v6, 2
	v_pack_b32_f16 v9, v10, v9
	v_pack_b32_f16 v8, v8, v13
	ds_write_b64 v6, v[8:9]
	s_and_saveexec_b64 s[0:1], vcc
	s_cbranch_execz .LBB19_6
; %bb.5:
	global_load_dwordx4 v[8:11], v[0:1], off offset:512
	s_waitcnt vmcnt(0)
	v_pk_mul_f32 v[0:1], v[8:9], s[8:9]
	v_pk_mul_f32 v[8:9], v[10:11], s[8:9]
	v_cvt_f16_f32_e32 v1, v1
	v_cvt_f16_f32_e32 v0, v0
	;; [unrolled: 1-line block ×4, first 2 shown]
	v_pack_b32_f16 v0, v0, v1
	v_pack_b32_f16 v1, v8, v9
	ds_write_b64 v6, v[0:1] offset:256
.LBB19_6:
	s_or_b64 exec, exec, s[0:1]
	v_or_b32_e32 v0, 2, v22
	v_and_b32_e32 v9, 14, v0
	v_mad_u64_u32 v[0:1], s[0:1], s14, v9, 0
	v_mov_b32_e32 v8, v1
	v_mad_u64_u32 v[8:9], s[0:1], s15, v9, v[8:9]
	v_mov_b32_e32 v1, v8
	v_lshlrev_b64 v[0:1], 2, v[0:1]
	v_add_co_u32_e64 v0, s[0:1], v2, v0
	v_addc_co_u32_e64 v1, s[0:1], v3, v1, s[0:1]
	global_load_dwordx4 v[8:11], v[0:1], off
	s_waitcnt vmcnt(0)
	v_pk_mul_f32 v[8:9], v[8:9], s[8:9]
	v_pk_mul_f32 v[10:11], v[10:11], s[8:9]
	v_cvt_f16_f32_e32 v12, v9
	v_cvt_f16_f32_e32 v9, v11
	;; [unrolled: 1-line block ×4, first 2 shown]
	v_pack_b32_f16 v9, v10, v9
	v_pack_b32_f16 v8, v8, v12
	ds_write_b64 v6, v[8:9] offset:384
	s_and_saveexec_b64 s[0:1], vcc
	s_cbranch_execz .LBB19_8
; %bb.7:
	global_load_dwordx4 v[8:11], v[0:1], off offset:512
	s_waitcnt vmcnt(0)
	v_pk_mul_f32 v[0:1], v[8:9], s[8:9]
	v_pk_mul_f32 v[8:9], v[10:11], s[8:9]
	v_cvt_f16_f32_e32 v1, v1
	v_cvt_f16_f32_e32 v0, v0
	;; [unrolled: 1-line block ×4, first 2 shown]
	v_pack_b32_f16 v0, v0, v1
	v_pack_b32_f16 v1, v8, v9
	ds_write_b64 v6, v[0:1] offset:640
.LBB19_8:
	s_or_b64 exec, exec, s[0:1]
	v_or_b32_e32 v0, 3, v22
	v_and_b32_e32 v9, 15, v0
	v_mad_u64_u32 v[0:1], s[0:1], s14, v9, 0
	v_mov_b32_e32 v8, v1
	v_mad_u64_u32 v[8:9], s[0:1], s15, v9, v[8:9]
	v_mov_b32_e32 v1, v8
	v_lshlrev_b64 v[0:1], 2, v[0:1]
	v_add_co_u32_e64 v0, s[0:1], v2, v0
	v_addc_co_u32_e64 v1, s[0:1], v3, v1, s[0:1]
	global_load_dwordx4 v[8:11], v[0:1], off
	s_waitcnt vmcnt(0)
	v_pk_mul_f32 v[2:3], v[8:9], s[8:9]
	v_pk_mul_f32 v[8:9], v[10:11], s[8:9]
	v_cvt_f16_f32_e32 v10, v3
	v_cvt_f16_f32_e32 v3, v9
	;; [unrolled: 1-line block ×4, first 2 shown]
	v_pack_b32_f16 v3, v8, v3
	v_pack_b32_f16 v2, v2, v10
	ds_write_b64 v6, v[2:3] offset:768
	s_and_saveexec_b64 s[0:1], vcc
	s_cbranch_execz .LBB19_10
; %bb.9:
	global_load_dwordx4 v[0:3], v[0:1], off offset:512
	s_waitcnt vmcnt(0)
	v_pk_mul_f32 v[0:1], v[0:1], s[8:9]
	v_pk_mul_f32 v[2:3], v[2:3], s[8:9]
	v_cvt_f16_f32_e32 v1, v1
	v_cvt_f16_f32_e32 v0, v0
	;; [unrolled: 1-line block ×4, first 2 shown]
	v_pack_b32_f16 v0, v0, v1
	v_pack_b32_f16 v1, v2, v3
	ds_write_b64 v6, v[0:1] offset:1024
.LBB19_10:
	s_or_b64 exec, exec, s[0:1]
	s_cmp_eq_u64 s[18:19], 0
	s_waitcnt lgkmcnt(0)
	s_barrier
	s_cbranch_scc1 .LBB19_12
; %bb.11:
	s_load_dword s0, s[4:5], 0xd0
	s_mov_b32 s1, 0
	s_waitcnt lgkmcnt(0)
	s_mul_i32 s0, s0, s33
	s_add_i32 s0, s0, s6
	s_lshl_b64 s[0:1], s[0:1], 2
	s_add_u32 s0, s18, s0
	s_addc_u32 s1, s19, s1
	s_load_dword s28, s[0:1], 0x0
.LBB19_12:
	s_lshl_b32 s6, s7, 5
	s_waitcnt lgkmcnt(0)
	s_cmp_lt_i32 s6, s28
	v_mbcnt_lo_u32_b32 v36, -1, 0
	s_cbranch_scc1 .LBB19_14
; %bb.13:
	v_mbcnt_hi_u32_b32 v19, -1, v36
	v_and_b32_e32 v0, 0x60, v19
	s_mov_b32 s8, 0
	v_add_u32_e32 v45, 32, v0
	v_xor_b32_e32 v46, 16, v19
	v_xor_b32_e32 v48, 8, v19
	;; [unrolled: 1-line block ×5, first 2 shown]
	s_mov_b64 s[0:1], 0
	s_mov_b32 s9, 0xfeffffff
	s_branch .LBB19_15
.LBB19_14:
	s_mov_b64 s[0:1], -1
                                        ; implicit-def: $sgpr9
                                        ; implicit-def: $sgpr8
                                        ; implicit-def: $vgpr19
                                        ; implicit-def: $vgpr45
                                        ; implicit-def: $vgpr46
                                        ; implicit-def: $vgpr48
                                        ; implicit-def: $vgpr49
                                        ; implicit-def: $vgpr47
                                        ; implicit-def: $vgpr44
.LBB19_15:
	v_lshlrev_b32_e32 v11, 2, v4
	s_andn2_b64 vcc, exec, s[0:1]
	v_mov_b32_e32 v3, s9
	v_mov_b32_e32 v13, s8
	;; [unrolled: 1-line block ×16, first 2 shown]
	s_cbranch_vccnz .LBB19_35
; %bb.16:
	s_sub_i32 s0, 0, s36
	s_mul_i32 s0, s0, s38
	s_mul_hi_u32 s0, s38, s0
	s_add_i32 s38, s38, s0
	s_load_dwordx4 s[24:27], s[4:5], 0x98
	s_load_dword s14, s[4:5], 0x54
	s_load_dwordx2 s[0:1], s[4:5], 0x8c
	s_abs_i32 s19, s29
	s_mul_hi_u32 s34, s19, s38
	s_waitcnt lgkmcnt(0)
	s_ashr_i32 s15, s26, 2
	s_ashr_i32 s26, s35, 1
	;; [unrolled: 1-line block ×4, first 2 shown]
	s_mul_i32 s25, s33, s25
	s_mul_hi_u32 s35, s33, s24
	s_add_i32 s25, s35, s25
	s_mul_i32 s35, s0, s24
	s_ashr_i32 s38, s29, 31
	s_ashr_i32 s37, s37, 31
	s_add_i32 s25, s25, s35
	s_mul_i32 s24, s33, s24
	s_add_u32 s10, s10, s24
	s_addc_u32 s11, s11, s25
	s_mul_i32 s25, s34, s36
	s_sub_i32 s19, s19, s25
	s_xor_b32 s24, s38, s37
	s_add_i32 s25, s34, 1
	s_sub_i32 s35, s19, s36
	s_cmp_ge_u32 s19, s36
	s_cselect_b32 s25, s25, s34
	s_cselect_b32 s19, s35, s19
	s_add_i32 s34, s25, 1
	s_cmp_ge_u32 s19, s36
	s_cselect_b32 s19, s34, s25
	s_load_dwordx2 s[8:9], s[4:5], 0xa8
	s_xor_b32 s19, s19, s24
	s_sub_i32 s19, s19, s24
	s_mul_i32 s1, s19, s1
	s_ashr_i32 s24, s1, 31
	s_add_u32 s1, s10, s1
	s_addc_u32 s10, s11, s24
	s_waitcnt lgkmcnt(0)
	s_mul_i32 s9, s33, s9
	s_mul_hi_u32 s11, s33, s8
	s_add_i32 s9, s11, s9
	s_mul_i32 s0, s0, s8
	s_add_i32 s9, s9, s0
	s_mul_i32 s0, s33, s8
	v_lshrrev_b32_e32 v0, 3, v4
	s_add_u32 s0, s12, s0
	s_mul_i32 s19, s19, s27
	v_add_u32_e32 v0, v22, v0
	s_addc_u32 s8, s13, s9
	s_ashr_i32 s9, s19, 31
	v_and_b32_e32 v1, 28, v11
	v_mul_u32_u24_e32 v2, 0x90, v0
	v_mul_lo_u32 v0, s18, v0
	s_add_u32 s11, s0, s19
	v_lshlrev_b32_e32 v3, 2, v1
	v_ashrrev_i32_e32 v1, 31, v0
	s_addc_u32 s8, s8, s9
	s_movk_i32 s9, 0x3000
	v_lshlrev_b64 v[0:1], 2, v[0:1]
	v_add3_u32 v22, v2, v3, s9
	v_mov_b32_e32 v2, s10
	v_add_co_u32_e32 v0, vcc, s1, v0
	v_addc_co_u32_e32 v1, vcc, v2, v1, vcc
	s_movk_i32 s0, 0x90
	v_add_co_u32_e32 v23, vcc, v0, v3
	v_mov_b32_e32 v0, 0x3000
	v_mad_u32_u24 v25, v4, s0, v0
	v_mov_b32_e32 v0, 0x4200
	v_addc_co_u32_e32 v24, vcc, 0, v1, vcc
	v_lshl_add_u32 v27, v29, 8, v0
	v_lshrrev_b32_e32 v0, 4, v4
	v_and_b32_e32 v1, 60, v11
	v_lshl_add_u32 v0, v29, 1, v0
	v_lshlrev_b32_e32 v2, 2, v1
	v_lshl_or_b32 v1, v0, 8, v2
	v_mul_lo_u32 v0, s15, v0
	v_mul_u32_u24_e32 v26, 0x600, v29
	v_add_u32_e32 v29, 0x3000, v1
	v_ashrrev_i32_e32 v1, 31, v0
	v_lshlrev_b64 v[0:1], 2, v[0:1]
	v_mov_b32_e32 v3, s8
	v_add_co_u32_e32 v0, vcc, s11, v0
	v_mad_u64_u32 v[14:15], s[0:1], v14, s26, v[4:5]
	v_addc_co_u32_e32 v1, vcc, v3, v1, vcc
	v_add_co_u32_e32 v30, vcc, v0, v2
	s_add_u32 s0, s4, 0xd0
	v_mov_b32_e32 v8, 0
	v_lshlrev_b32_e32 v28, 3, v4
	v_addc_co_u32_e32 v31, vcc, 0, v1, vcc
	s_addc_u32 s1, s5, 0
	v_mov_b32_e32 v15, 0
	v_mov_b32_e32 v6, 0
	;; [unrolled: 1-line block ×4, first 2 shown]
	s_mov_b32 s10, 0x3f200000
	s_mov_b32 s11, 0x3fb8aa3b
	;; [unrolled: 1-line block ×4, first 2 shown]
	v_mov_b32_e32 v33, 0xbd5c1c4e
	v_mov_b32_e32 v34, 0x3e088382
	;; [unrolled: 1-line block ×3, first 2 shown]
	v_mbcnt_hi_u32_b32 v19, -1, v36
	s_brev_b32 s19, -2
	v_mov_b32_e32 v36, 0x7f800000
	v_mov_b32_e32 v21, 0
	;; [unrolled: 1-line block ×13, first 2 shown]
.LBB19_17:                              ; =>This Inner Loop Header: Depth=1
	s_mul_hi_i32 s9, s6, s18
	s_mul_i32 s8, s6, s18
	s_lshl_b64 s[8:9], s[8:9], 2
	v_mov_b32_e32 v1, s9
	v_add_co_u32_e32 v0, vcc, s8, v23
	v_addc_co_u32_e32 v1, vcc, v24, v1, vcc
	global_load_dwordx4 v[46:49], v[0:1], off
	v_mov_b32_e32 v44, 0
	v_mov_b32_e32 v43, 0
	;; [unrolled: 1-line block ×4, first 2 shown]
	s_waitcnt vmcnt(0)
	ds_write_b128 v22, v[46:49]
	s_waitcnt lgkmcnt(0)
	s_barrier
	ds_read_b128 v[46:49], v25
	ds_read_b128 v[50:53], v26
	ds_read_b128 v[54:57], v26 offset:384
	ds_read_b128 v[58:61], v26 offset:768
	ds_read_b128 v[62:65], v26 offset:1152
	s_waitcnt lgkmcnt(3)
	;;#ASMSTART
	v_dot2_f32_f16 v44, v46, v50, v44
	;;#ASMEND
	;;#ASMSTART
	v_dot2_f32_f16 v44, v47, v51, v44
	;;#ASMEND
	;;#ASMSTART
	v_dot2_f32_f16 v44, v48, v52, v44
	;;#ASMEND
	;;#ASMSTART
	v_dot2_f32_f16 v44, v49, v53, v44
	;;#ASMEND
	s_waitcnt lgkmcnt(2)
	;;#ASMSTART
	v_dot2_f32_f16 v43, v46, v54, v43
	;;#ASMEND
	;;#ASMSTART
	v_dot2_f32_f16 v43, v47, v55, v43
	;;#ASMEND
	;;#ASMSTART
	v_dot2_f32_f16 v43, v48, v56, v43
	;;#ASMEND
	;;#ASMSTART
	v_dot2_f32_f16 v43, v49, v57, v43
	;;#ASMEND
	s_waitcnt lgkmcnt(1)
	;;#ASMSTART
	v_dot2_f32_f16 v42, v46, v58, v42
	;;#ASMEND
	;;#ASMSTART
	v_dot2_f32_f16 v42, v47, v59, v42
	;;#ASMEND
	;;#ASMSTART
	v_dot2_f32_f16 v42, v48, v60, v42
	;;#ASMEND
	;;#ASMSTART
	v_dot2_f32_f16 v42, v49, v61, v42
	;;#ASMEND
	s_waitcnt lgkmcnt(0)
	;;#ASMSTART
	v_dot2_f32_f16 v41, v46, v62, v41
	;;#ASMEND
	;;#ASMSTART
	v_dot2_f32_f16 v41, v47, v63, v41
	;;#ASMEND
	;;#ASMSTART
	v_dot2_f32_f16 v41, v48, v64, v41
	;;#ASMEND
	;;#ASMSTART
	v_dot2_f32_f16 v41, v49, v65, v41
	;;#ASMEND
	ds_read_b128 v[46:49], v25 offset:16
	ds_read_b128 v[50:53], v26 offset:16
	ds_read_b128 v[54:57], v26 offset:400
	ds_read_b128 v[58:61], v26 offset:784
	ds_read_b128 v[62:65], v26 offset:1168
	s_waitcnt lgkmcnt(3)
	;;#ASMSTART
	v_dot2_f32_f16 v44, v46, v50, v44
	;;#ASMEND
	;;#ASMSTART
	v_dot2_f32_f16 v44, v47, v51, v44
	;;#ASMEND
	;;#ASMSTART
	v_dot2_f32_f16 v44, v48, v52, v44
	;;#ASMEND
	;;#ASMSTART
	v_dot2_f32_f16 v44, v49, v53, v44
	;;#ASMEND
	s_waitcnt lgkmcnt(2)
	;;#ASMSTART
	v_dot2_f32_f16 v43, v46, v54, v43
	;;#ASMEND
	;;#ASMSTART
	v_dot2_f32_f16 v43, v47, v55, v43
	;;#ASMEND
	;;#ASMSTART
	v_dot2_f32_f16 v43, v48, v56, v43
	;;#ASMEND
	;;#ASMSTART
	v_dot2_f32_f16 v43, v49, v57, v43
	;;#ASMEND
	s_waitcnt lgkmcnt(1)
	;;#ASMSTART
	v_dot2_f32_f16 v42, v46, v58, v42
	;;#ASMEND
	;;#ASMSTART
	v_dot2_f32_f16 v42, v47, v59, v42
	;;#ASMEND
	;;#ASMSTART
	v_dot2_f32_f16 v42, v48, v60, v42
	;;#ASMEND
	;;#ASMSTART
	v_dot2_f32_f16 v42, v49, v61, v42
	;;#ASMEND
	s_waitcnt lgkmcnt(0)
	;;#ASMSTART
	v_dot2_f32_f16 v41, v46, v62, v41
	;;#ASMEND
	;;#ASMSTART
	v_dot2_f32_f16 v41, v47, v63, v41
	;;#ASMEND
	;;#ASMSTART
	v_dot2_f32_f16 v41, v48, v64, v41
	;;#ASMEND
	;;#ASMSTART
	v_dot2_f32_f16 v41, v49, v65, v41
	;;#ASMEND
	ds_read_b128 v[46:49], v25 offset:32
	ds_read_b128 v[50:53], v26 offset:32
	;; [unrolled: 57-line block ×7, first 2 shown]
	ds_read_b128 v[54:57], v26 offset:496
	ds_read_b128 v[58:61], v26 offset:880
	;; [unrolled: 1-line block ×3, first 2 shown]
	s_waitcnt lgkmcnt(3)
	;;#ASMSTART
	v_dot2_f32_f16 v44, v46, v50, v44
	;;#ASMEND
	;;#ASMSTART
	v_dot2_f32_f16 v44, v47, v51, v44
	;;#ASMEND
	;;#ASMSTART
	v_dot2_f32_f16 v44, v48, v52, v44
	;;#ASMEND
	;;#ASMSTART
	v_dot2_f32_f16 v44, v49, v53, v44
	;;#ASMEND
	s_waitcnt lgkmcnt(2)
	;;#ASMSTART
	v_dot2_f32_f16 v43, v46, v54, v43
	;;#ASMEND
	;;#ASMSTART
	v_dot2_f32_f16 v43, v47, v55, v43
	;;#ASMEND
	;;#ASMSTART
	v_dot2_f32_f16 v43, v48, v56, v43
	;;#ASMEND
	;;#ASMSTART
	v_dot2_f32_f16 v43, v49, v57, v43
	;;#ASMEND
	;; [unrolled: 13-line block ×4, first 2 shown]
	s_barrier
	global_load_dwordx4 v[46:49], v[0:1], off offset:128
	s_waitcnt vmcnt(0)
	ds_write_b128 v22, v[46:49]
	s_waitcnt lgkmcnt(0)
	s_barrier
	ds_read_b128 v[46:49], v25
	ds_read_b128 v[50:53], v26 offset:128
	ds_read_b128 v[54:57], v26 offset:512
	ds_read_b128 v[58:61], v26 offset:896
	ds_read_b128 v[62:65], v26 offset:1280
	s_waitcnt lgkmcnt(3)
	;;#ASMSTART
	v_dot2_f32_f16 v44, v46, v50, v44
	;;#ASMEND
	;;#ASMSTART
	v_dot2_f32_f16 v44, v47, v51, v44
	;;#ASMEND
	;;#ASMSTART
	v_dot2_f32_f16 v44, v48, v52, v44
	;;#ASMEND
	;;#ASMSTART
	v_dot2_f32_f16 v44, v49, v53, v44
	;;#ASMEND
	s_waitcnt lgkmcnt(2)
	;;#ASMSTART
	v_dot2_f32_f16 v43, v46, v54, v43
	;;#ASMEND
	;;#ASMSTART
	v_dot2_f32_f16 v43, v47, v55, v43
	;;#ASMEND
	;;#ASMSTART
	v_dot2_f32_f16 v43, v48, v56, v43
	;;#ASMEND
	;;#ASMSTART
	v_dot2_f32_f16 v43, v49, v57, v43
	;;#ASMEND
	s_waitcnt lgkmcnt(1)
	;;#ASMSTART
	v_dot2_f32_f16 v42, v46, v58, v42
	;;#ASMEND
	;;#ASMSTART
	v_dot2_f32_f16 v42, v47, v59, v42
	;;#ASMEND
	;;#ASMSTART
	v_dot2_f32_f16 v42, v48, v60, v42
	;;#ASMEND
	;;#ASMSTART
	v_dot2_f32_f16 v42, v49, v61, v42
	;;#ASMEND
	s_waitcnt lgkmcnt(0)
	;;#ASMSTART
	v_dot2_f32_f16 v41, v46, v62, v41
	;;#ASMEND
	;;#ASMSTART
	v_dot2_f32_f16 v41, v47, v63, v41
	;;#ASMEND
	;;#ASMSTART
	v_dot2_f32_f16 v41, v48, v64, v41
	;;#ASMEND
	;;#ASMSTART
	v_dot2_f32_f16 v41, v49, v65, v41
	;;#ASMEND
	ds_read_b128 v[46:49], v25 offset:16
	ds_read_b128 v[50:53], v26 offset:144
	ds_read_b128 v[54:57], v26 offset:528
	ds_read_b128 v[58:61], v26 offset:912
	ds_read_b128 v[62:65], v26 offset:1296
	s_waitcnt lgkmcnt(3)
	;;#ASMSTART
	v_dot2_f32_f16 v44, v46, v50, v44
	;;#ASMEND
	;;#ASMSTART
	v_dot2_f32_f16 v44, v47, v51, v44
	;;#ASMEND
	;;#ASMSTART
	v_dot2_f32_f16 v44, v48, v52, v44
	;;#ASMEND
	;;#ASMSTART
	v_dot2_f32_f16 v44, v49, v53, v44
	;;#ASMEND
	s_waitcnt lgkmcnt(2)
	;;#ASMSTART
	v_dot2_f32_f16 v43, v46, v54, v43
	;;#ASMEND
	;;#ASMSTART
	v_dot2_f32_f16 v43, v47, v55, v43
	;;#ASMEND
	;;#ASMSTART
	v_dot2_f32_f16 v43, v48, v56, v43
	;;#ASMEND
	;;#ASMSTART
	v_dot2_f32_f16 v43, v49, v57, v43
	;;#ASMEND
	s_waitcnt lgkmcnt(1)
	;;#ASMSTART
	v_dot2_f32_f16 v42, v46, v58, v42
	;;#ASMEND
	;;#ASMSTART
	v_dot2_f32_f16 v42, v47, v59, v42
	;;#ASMEND
	;;#ASMSTART
	v_dot2_f32_f16 v42, v48, v60, v42
	;;#ASMEND
	;;#ASMSTART
	v_dot2_f32_f16 v42, v49, v61, v42
	;;#ASMEND
	s_waitcnt lgkmcnt(0)
	;;#ASMSTART
	v_dot2_f32_f16 v41, v46, v62, v41
	;;#ASMEND
	;;#ASMSTART
	v_dot2_f32_f16 v41, v47, v63, v41
	;;#ASMEND
	;;#ASMSTART
	v_dot2_f32_f16 v41, v48, v64, v41
	;;#ASMEND
	;;#ASMSTART
	v_dot2_f32_f16 v41, v49, v65, v41
	;;#ASMEND
	ds_read_b128 v[46:49], v25 offset:32
	;; [unrolled: 57-line block ×7, first 2 shown]
	ds_read_b128 v[50:53], v26 offset:240
	ds_read_b128 v[54:57], v26 offset:624
	ds_read_b128 v[58:61], v26 offset:1008
	ds_read_b128 v[62:65], v26 offset:1392
	s_waitcnt lgkmcnt(3)
	;;#ASMSTART
	v_dot2_f32_f16 v44, v46, v50, v44
	;;#ASMEND
	;;#ASMSTART
	v_dot2_f32_f16 v44, v47, v51, v44
	;;#ASMEND
	;;#ASMSTART
	v_dot2_f32_f16 v44, v48, v52, v44
	;;#ASMEND
	;;#ASMSTART
	v_dot2_f32_f16 v44, v49, v53, v44
	;;#ASMEND
	s_waitcnt lgkmcnt(2)
	;;#ASMSTART
	v_dot2_f32_f16 v43, v46, v54, v43
	;;#ASMEND
	;;#ASMSTART
	v_dot2_f32_f16 v43, v47, v55, v43
	;;#ASMEND
	;;#ASMSTART
	v_dot2_f32_f16 v43, v48, v56, v43
	;;#ASMEND
	;;#ASMSTART
	v_dot2_f32_f16 v43, v49, v57, v43
	;;#ASMEND
	;; [unrolled: 13-line block ×4, first 2 shown]
	s_barrier
	global_load_dwordx4 v[0:3], v[0:1], off offset:256
	v_add_u32_e32 v62, s6, v14
	v_ashrrev_i32_e32 v63, 31, v62
	v_lshlrev_b64 v[62:63], 1, v[62:63]
	v_add_co_u32_e32 v62, vcc, s30, v62
	v_addc_co_u32_e32 v63, vcc, v32, v63, vcc
	s_waitcnt vmcnt(0)
	ds_write_b128 v22, v[0:3]
	s_waitcnt lgkmcnt(0)
	s_barrier
	ds_read_b128 v[0:3], v25
	ds_read_b128 v[46:49], v26 offset:256
	ds_read_b128 v[50:53], v26 offset:640
	ds_read_b128 v[54:57], v26 offset:1024
	ds_read_b128 v[58:61], v26 offset:1408
	s_waitcnt lgkmcnt(3)
	;;#ASMSTART
	v_dot2_f32_f16 v44, v0, v46, v44
	;;#ASMEND
	;;#ASMSTART
	v_dot2_f32_f16 v44, v1, v47, v44
	;;#ASMEND
	;;#ASMSTART
	v_dot2_f32_f16 v44, v2, v48, v44
	;;#ASMEND
	;;#ASMSTART
	v_dot2_f32_f16 v44, v3, v49, v44
	;;#ASMEND
	s_waitcnt lgkmcnt(2)
	;;#ASMSTART
	v_dot2_f32_f16 v43, v0, v50, v43
	;;#ASMEND
	;;#ASMSTART
	v_dot2_f32_f16 v43, v1, v51, v43
	;;#ASMEND
	;;#ASMSTART
	v_dot2_f32_f16 v43, v2, v52, v43
	;;#ASMEND
	;;#ASMSTART
	v_dot2_f32_f16 v43, v3, v53, v43
	;;#ASMEND
	s_waitcnt lgkmcnt(1)
	;;#ASMSTART
	v_dot2_f32_f16 v42, v0, v54, v42
	;;#ASMEND
	;;#ASMSTART
	v_dot2_f32_f16 v42, v1, v55, v42
	;;#ASMEND
	;;#ASMSTART
	v_dot2_f32_f16 v42, v2, v56, v42
	;;#ASMEND
	;;#ASMSTART
	v_dot2_f32_f16 v42, v3, v57, v42
	;;#ASMEND
	s_waitcnt lgkmcnt(0)
	;;#ASMSTART
	v_dot2_f32_f16 v41, v0, v58, v41
	;;#ASMEND
	;;#ASMSTART
	v_dot2_f32_f16 v41, v1, v59, v41
	;;#ASMEND
	;;#ASMSTART
	v_dot2_f32_f16 v41, v2, v60, v41
	;;#ASMEND
	;;#ASMSTART
	v_dot2_f32_f16 v41, v3, v61, v41
	;;#ASMEND
	ds_read_b128 v[0:3], v25 offset:16
	ds_read_b128 v[46:49], v26 offset:272
	ds_read_b128 v[50:53], v26 offset:656
	ds_read_b128 v[54:57], v26 offset:1040
	ds_read_b128 v[58:61], v26 offset:1424
	s_waitcnt lgkmcnt(3)
	;;#ASMSTART
	v_dot2_f32_f16 v44, v0, v46, v44
	;;#ASMEND
	;;#ASMSTART
	v_dot2_f32_f16 v44, v1, v47, v44
	;;#ASMEND
	;;#ASMSTART
	v_dot2_f32_f16 v44, v2, v48, v44
	;;#ASMEND
	;;#ASMSTART
	v_dot2_f32_f16 v44, v3, v49, v44
	;;#ASMEND
	s_waitcnt lgkmcnt(2)
	;;#ASMSTART
	v_dot2_f32_f16 v43, v0, v50, v43
	;;#ASMEND
	;;#ASMSTART
	v_dot2_f32_f16 v43, v1, v51, v43
	;;#ASMEND
	;;#ASMSTART
	v_dot2_f32_f16 v43, v2, v52, v43
	;;#ASMEND
	;;#ASMSTART
	v_dot2_f32_f16 v43, v3, v53, v43
	;;#ASMEND
	s_waitcnt lgkmcnt(1)
	;;#ASMSTART
	v_dot2_f32_f16 v42, v0, v54, v42
	;;#ASMEND
	;;#ASMSTART
	v_dot2_f32_f16 v42, v1, v55, v42
	;;#ASMEND
	;;#ASMSTART
	v_dot2_f32_f16 v42, v2, v56, v42
	;;#ASMEND
	;;#ASMSTART
	v_dot2_f32_f16 v42, v3, v57, v42
	;;#ASMEND
	s_waitcnt lgkmcnt(0)
	;;#ASMSTART
	v_dot2_f32_f16 v41, v0, v58, v41
	;;#ASMEND
	;;#ASMSTART
	v_dot2_f32_f16 v41, v1, v59, v41
	;;#ASMEND
	;;#ASMSTART
	v_dot2_f32_f16 v41, v2, v60, v41
	;;#ASMEND
	;;#ASMSTART
	v_dot2_f32_f16 v41, v3, v61, v41
	;;#ASMEND
	ds_read_b128 v[0:3], v25 offset:32
	;; [unrolled: 57-line block ×7, first 2 shown]
	ds_read_b128 v[46:49], v26 offset:368
	ds_read_b128 v[50:53], v26 offset:752
	;; [unrolled: 1-line block ×4, first 2 shown]
	s_waitcnt lgkmcnt(3)
	;;#ASMSTART
	v_dot2_f32_f16 v44, v0, v46, v44
	;;#ASMEND
	;;#ASMSTART
	v_dot2_f32_f16 v44, v1, v47, v44
	;;#ASMEND
	;;#ASMSTART
	v_dot2_f32_f16 v44, v2, v48, v44
	;;#ASMEND
	;;#ASMSTART
	v_dot2_f32_f16 v44, v3, v49, v44
	;;#ASMEND
	s_waitcnt lgkmcnt(2)
	;;#ASMSTART
	v_dot2_f32_f16 v43, v0, v50, v43
	;;#ASMEND
	;;#ASMSTART
	v_dot2_f32_f16 v43, v1, v51, v43
	;;#ASMEND
	;;#ASMSTART
	v_dot2_f32_f16 v43, v2, v52, v43
	;;#ASMEND
	;;#ASMSTART
	v_dot2_f32_f16 v43, v3, v53, v43
	;;#ASMEND
	;; [unrolled: 13-line block ×4, first 2 shown]
	flat_load_ushort v54, v[62:63]
	v_cmp_nlt_f32_e64 s[8:9], |v44|, s10
                                        ; implicit-def: $vgpr1
	s_and_saveexec_b64 s[24:25], s[8:9]
	s_xor_b64 s[8:9], exec, s[24:25]
	s_cbranch_execz .LBB19_19
; %bb.18:                               ;   in Loop: Header=BB19_17 Depth=1
	v_add_f32_e64 v0, |v44|, |v44|
	v_mul_f32_e32 v1, 0x3fb8aa3b, v0
	v_rndne_f32_e32 v2, v1
	v_sub_f32_e32 v3, v1, v2
	v_fma_f32 v1, v0, s11, -v1
	v_fmac_f32_e32 v1, 0x32a5705f, v0
	v_add_f32_e32 v1, v3, v1
	v_cvt_i32_f32_e32 v2, v2
	v_exp_f32_e32 v1, v1
	v_cmp_ngt_f32_e32 vcc, s12, v0
	v_ldexp_f32 v1, v1, v2
	v_cndmask_b32_e32 v1, 0, v1, vcc
	v_cmp_nlt_f32_e32 vcc, s13, v0
	v_cndmask_b32_e32 v0, v36, v1, vcc
	v_add_f32_e32 v0, 1.0, v0
	v_rcp_f32_e32 v0, v0
	v_fma_f32 v1, v0, -2.0, 1.0
.LBB19_19:                              ;   in Loop: Header=BB19_17 Depth=1
	s_andn2_saveexec_b64 s[8:9], s[8:9]
; %bb.20:                               ;   in Loop: Header=BB19_17 Depth=1
	v_mul_f32_e32 v0, v44, v44
	v_mov_b32_e32 v1, 0x3ca908c9
	v_fmac_f32_e32 v1, 0xbbbac73d, v0
	v_fma_f32 v1, v0, v1, v33
	v_fma_f32 v1, v0, v1, v34
	;; [unrolled: 1-line block ×3, first 2 shown]
	v_mul_f32_e64 v1, |v44|, v1
	v_fma_f32 v1, v0, v1, |v44|
; %bb.21:                               ;   in Loop: Header=BB19_17 Depth=1
	s_or_b64 exec, exec, s[8:9]
	v_and_b32_e32 v0, 0x60, v19
	v_add_u32_e32 v45, 32, v0
	v_xor_b32_e32 v46, 16, v19
	v_bfi_b32 v1, s19, v1, v44
	v_cmp_lt_i32_e32 vcc, v46, v45
	s_waitcnt vmcnt(0) lgkmcnt(0)
	v_fma_mix_f32 v3, v1, s14, v54 op_sel_hi:[0,0,1]
	v_cndmask_b32_e32 v0, v19, v46, vcc
	v_add_f32_e32 v1, 0x40051340, v3
	v_max_f32_e32 v2, v37, v37
	v_lshlrev_b32_e32 v0, 2, v0
	v_max_f32_e32 v1, v2, v1
	ds_bpermute_b32 v2, v0, v1
	v_xor_b32_e32 v48, 8, v19
	v_cmp_lt_i32_e32 vcc, v48, v45
	v_cndmask_b32_e32 v44, v19, v48, vcc
	v_lshlrev_b32_e32 v51, 2, v44
	s_waitcnt lgkmcnt(0)
	v_max_f32_e32 v2, v2, v2
	v_max_f32_e32 v1, v1, v2
	ds_bpermute_b32 v44, v51, v1
	v_xor_b32_e32 v49, 4, v19
	v_cmp_lt_i32_e32 vcc, v49, v45
	v_cndmask_b32_e32 v2, v19, v49, vcc
	v_lshlrev_b32_e32 v2, 2, v2
	s_waitcnt lgkmcnt(0)
	v_max_f32_e32 v44, v44, v44
	v_max_f32_e32 v44, v1, v44
	ds_bpermute_b32 v50, v2, v44
	v_xor_b32_e32 v47, 2, v19
	v_cmp_lt_i32_e32 vcc, v47, v45
	v_cndmask_b32_e32 v1, v19, v47, vcc
	v_lshlrev_b32_e32 v1, 2, v1
	s_waitcnt lgkmcnt(0)
	v_max_f32_e32 v50, v50, v50
	v_max_f32_e32 v52, v44, v50
	ds_bpermute_b32 v53, v1, v52
	v_xor_b32_e32 v44, 1, v19
	v_cmp_lt_i32_e32 vcc, v44, v45
	v_cndmask_b32_e32 v50, v19, v44, vcc
	v_lshlrev_b32_e32 v50, 2, v50
	s_waitcnt lgkmcnt(0)
	v_max_f32_e32 v53, v53, v53
	v_max_f32_e32 v52, v52, v53
	ds_bpermute_b32 v53, v50, v52
	v_cmp_nlt_f32_e64 s[8:9], |v43|, s10
                                        ; implicit-def: $vgpr55
	s_and_saveexec_b64 s[24:25], s[8:9]
	s_xor_b64 s[8:9], exec, s[24:25]
	s_cbranch_execz .LBB19_23
; %bb.22:                               ;   in Loop: Header=BB19_17 Depth=1
	v_add_f32_e64 v55, |v43|, |v43|
	v_mul_f32_e32 v56, 0x3fb8aa3b, v55
	v_rndne_f32_e32 v57, v56
	v_sub_f32_e32 v58, v56, v57
	v_fma_f32 v56, v55, s11, -v56
	v_fmac_f32_e32 v56, 0x32a5705f, v55
	v_add_f32_e32 v56, v58, v56
	v_cvt_i32_f32_e32 v57, v57
	v_exp_f32_e32 v56, v56
	v_cmp_ngt_f32_e32 vcc, s12, v55
	v_ldexp_f32 v56, v56, v57
	v_cndmask_b32_e32 v56, 0, v56, vcc
	v_cmp_nlt_f32_e32 vcc, s13, v55
	v_cndmask_b32_e32 v55, v36, v56, vcc
	v_add_f32_e32 v55, 1.0, v55
	v_rcp_f32_e32 v55, v55
	v_fma_f32 v55, v55, -2.0, 1.0
.LBB19_23:                              ;   in Loop: Header=BB19_17 Depth=1
	s_andn2_saveexec_b64 s[8:9], s[8:9]
; %bb.24:                               ;   in Loop: Header=BB19_17 Depth=1
	v_mul_f32_e32 v55, v43, v43
	v_mov_b32_e32 v56, 0x3ca908c9
	v_fmac_f32_e32 v56, 0xbbbac73d, v55
	v_fma_f32 v56, v55, v56, v33
	v_fma_f32 v56, v55, v56, v34
	;; [unrolled: 1-line block ×3, first 2 shown]
	v_mul_f32_e64 v56, |v43|, v56
	v_fma_f32 v55, v55, v56, |v43|
; %bb.25:                               ;   in Loop: Header=BB19_17 Depth=1
	s_or_b64 exec, exec, s[8:9]
	v_cvt_f32_f16_e32 v54, v54
	v_bfi_b32 v43, s19, v55, v43
	v_max_f32_e32 v56, v40, v40
	v_cmp_nlt_f32_e64 s[8:9], |v42|, s10
	v_fma_f32 v43, s14, v43, v54
	v_add_f32_e32 v55, 0x40051340, v43
	v_max_f32_e32 v55, v56, v55
	ds_bpermute_b32 v56, v0, v55
                                        ; implicit-def: $vgpr57
	s_waitcnt lgkmcnt(0)
	v_max_f32_e32 v56, v56, v56
	v_max_f32_e32 v55, v55, v56
	ds_bpermute_b32 v56, v51, v55
	s_waitcnt lgkmcnt(0)
	v_max_f32_e32 v56, v56, v56
	v_max_f32_e32 v55, v55, v56
	ds_bpermute_b32 v56, v2, v55
	;; [unrolled: 4-line block ×4, first 2 shown]
	s_and_saveexec_b64 s[24:25], s[8:9]
	s_xor_b64 s[8:9], exec, s[24:25]
	s_cbranch_execz .LBB19_27
; %bb.26:                               ;   in Loop: Header=BB19_17 Depth=1
	v_add_f32_e64 v57, |v42|, |v42|
	v_mul_f32_e32 v58, 0x3fb8aa3b, v57
	v_rndne_f32_e32 v59, v58
	v_sub_f32_e32 v60, v58, v59
	v_fma_f32 v58, v57, s11, -v58
	v_fmac_f32_e32 v58, 0x32a5705f, v57
	v_add_f32_e32 v58, v60, v58
	v_cvt_i32_f32_e32 v59, v59
	v_exp_f32_e32 v58, v58
	v_cmp_ngt_f32_e32 vcc, s12, v57
	v_ldexp_f32 v58, v58, v59
	v_cndmask_b32_e32 v58, 0, v58, vcc
	v_cmp_nlt_f32_e32 vcc, s13, v57
	v_cndmask_b32_e32 v57, v36, v58, vcc
	v_add_f32_e32 v57, 1.0, v57
	v_rcp_f32_e32 v57, v57
	v_fma_f32 v57, v57, -2.0, 1.0
.LBB19_27:                              ;   in Loop: Header=BB19_17 Depth=1
	s_andn2_saveexec_b64 s[8:9], s[8:9]
; %bb.28:                               ;   in Loop: Header=BB19_17 Depth=1
	v_mul_f32_e32 v57, v42, v42
	v_mov_b32_e32 v58, 0x3ca908c9
	v_fmac_f32_e32 v58, 0xbbbac73d, v57
	v_fma_f32 v58, v57, v58, v33
	v_fma_f32 v58, v57, v58, v34
	;; [unrolled: 1-line block ×3, first 2 shown]
	v_mul_f32_e64 v58, |v42|, v58
	v_fma_f32 v57, v57, v58, |v42|
; %bb.29:                               ;   in Loop: Header=BB19_17 Depth=1
	s_or_b64 exec, exec, s[8:9]
	v_bfi_b32 v42, s19, v57, v42
	v_fma_f32 v42, s14, v42, v54
	v_add_f32_e32 v57, 0x40051340, v42
	v_max_f32_e32 v58, v38, v38
	v_max_f32_e32 v57, v58, v57
	ds_bpermute_b32 v58, v0, v57
	v_cmp_nlt_f32_e64 s[8:9], |v41|, s10
                                        ; implicit-def: $vgpr59
	s_waitcnt lgkmcnt(0)
	v_max_f32_e32 v58, v58, v58
	v_max_f32_e32 v57, v57, v58
	ds_bpermute_b32 v58, v51, v57
	s_waitcnt lgkmcnt(0)
	v_max_f32_e32 v58, v58, v58
	v_max_f32_e32 v57, v57, v58
	ds_bpermute_b32 v58, v2, v57
	;; [unrolled: 4-line block ×4, first 2 shown]
	s_and_saveexec_b64 s[24:25], s[8:9]
	s_xor_b64 s[8:9], exec, s[24:25]
	s_cbranch_execz .LBB19_31
; %bb.30:                               ;   in Loop: Header=BB19_17 Depth=1
	v_add_f32_e64 v59, |v41|, |v41|
	v_mul_f32_e32 v60, 0x3fb8aa3b, v59
	v_rndne_f32_e32 v61, v60
	v_sub_f32_e32 v62, v60, v61
	v_fma_f32 v60, v59, s11, -v60
	v_fmac_f32_e32 v60, 0x32a5705f, v59
	v_add_f32_e32 v60, v62, v60
	v_cvt_i32_f32_e32 v61, v61
	v_exp_f32_e32 v60, v60
	v_cmp_ngt_f32_e32 vcc, s12, v59
	v_ldexp_f32 v60, v60, v61
	v_cndmask_b32_e32 v60, 0, v60, vcc
	v_cmp_nlt_f32_e32 vcc, s13, v59
	v_cndmask_b32_e32 v59, v36, v60, vcc
	v_add_f32_e32 v59, 1.0, v59
	v_rcp_f32_e32 v59, v59
	v_fma_f32 v59, v59, -2.0, 1.0
.LBB19_31:                              ;   in Loop: Header=BB19_17 Depth=1
	s_andn2_saveexec_b64 s[8:9], s[8:9]
; %bb.32:                               ;   in Loop: Header=BB19_17 Depth=1
	v_mul_f32_e32 v59, v41, v41
	v_mov_b32_e32 v60, 0x3ca908c9
	v_fmac_f32_e32 v60, 0xbbbac73d, v59
	v_fma_f32 v60, v59, v60, v33
	v_fma_f32 v60, v59, v60, v34
	;; [unrolled: 1-line block ×3, first 2 shown]
	v_mul_f32_e64 v60, |v41|, v60
	v_fma_f32 v59, v59, v60, |v41|
; %bb.33:                               ;   in Loop: Header=BB19_17 Depth=1
	s_or_b64 exec, exec, s[8:9]
	v_bfi_b32 v41, s19, v59, v41
	v_fmac_f32_e32 v54, s14, v41
	v_add_f32_e32 v41, 0x40051340, v54
	v_max_f32_e32 v59, v39, v39
	v_max_f32_e32 v41, v59, v41
	ds_bpermute_b32 v0, v0, v41
	s_mul_hi_i32 s9, s6, s15
	s_mul_i32 s8, s6, s15
	s_lshl_b64 s[8:9], s[8:9], 2
	s_waitcnt lgkmcnt(0)
	v_max_f32_e32 v0, v0, v0
	v_max_f32_e32 v0, v41, v0
	ds_bpermute_b32 v41, v51, v0
	v_max_f32_e32 v51, v53, v53
	v_max_f32_e32 v53, v55, v55
	v_max_f32_e32 v55, v58, v58
	s_barrier
	s_waitcnt lgkmcnt(0)
	v_max_f32_e32 v41, v41, v41
	v_max_f32_e32 v0, v0, v41
	ds_bpermute_b32 v2, v2, v0
	v_max_f32_e32 v41, v52, v52
	v_max_f32_e32 v52, v56, v56
	s_waitcnt lgkmcnt(0)
	v_add_u32_e32 v90, 0x3800, v28
	v_max_f32_e32 v2, v2, v2
	v_max_f32_e32 v56, v0, v2
	ds_bpermute_b32 v58, v1, v56
	v_max_f32_e32 v0, v41, v51
	v_max_f32_e32 v1, v53, v52
	v_sub_f32_e32 v52, v3, v0
	v_max_f32_e32 v2, v57, v57
	s_waitcnt lgkmcnt(0)
	v_max_f32_e32 v41, v58, v58
	v_max_f32_e32 v41, v56, v41
	ds_bpermute_b32 v50, v50, v41
	v_sub_f32_e32 v51, v43, v1
	v_mul_f32_e32 v43, 0x3fb8aa3b, v52
	v_max_f32_e32 v2, v2, v55
	v_rndne_f32_e32 v55, v43
	s_waitcnt lgkmcnt(0)
	v_max_f32_e32 v3, v50, v50
	v_max_f32_e32 v3, v41, v3
	v_sub_f32_e32 v41, v54, v3
	v_mul_f32_e32 v50, 0x3fb8aa3b, v41
	v_fma_f32 v53, v41, s11, -v50
	v_rndne_f32_e32 v54, v50
	v_fmac_f32_e32 v53, 0x32a5705f, v41
	v_sub_f32_e32 v50, v50, v54
	v_add_f32_e32 v50, v50, v53
	v_cvt_i32_f32_e32 v54, v54
	v_exp_f32_e32 v50, v50
	v_fma_f32 v53, v52, s11, -v43
	v_fmac_f32_e32 v53, 0x32a5705f, v52
	v_sub_f32_e32 v43, v43, v55
	v_add_f32_e32 v43, v43, v53
	v_ldexp_f32 v50, v50, v54
	v_exp_f32_e32 v53, v43
	v_cvt_i32_f32_e32 v54, v55
	v_cmp_ngt_f32_e32 vcc, s12, v41
	v_cndmask_b32_e32 v43, 0, v50, vcc
	v_mul_f32_e32 v50, 0x3fb8aa3b, v51
	v_cmp_nlt_f32_e32 vcc, s13, v41
	v_ldexp_f32 v41, v53, v54
	v_fma_f32 v53, v51, s11, -v50
	v_rndne_f32_e32 v54, v50
	v_fmac_f32_e32 v53, 0x32a5705f, v51
	v_sub_f32_e32 v50, v50, v54
	v_add_f32_e32 v50, v50, v53
	v_exp_f32_e32 v50, v50
	v_cvt_i32_f32_e32 v53, v54
	v_cndmask_b32_e32 v43, v36, v43, vcc
	v_cmp_ngt_f32_e32 vcc, s12, v52
	v_cndmask_b32_e32 v41, 0, v41, vcc
	v_cmp_nlt_f32_e32 vcc, s13, v52
	v_cndmask_b32_e32 v54, v36, v41, vcc
	v_ldexp_f32 v41, v50, v53
	v_cmp_ngt_f32_e32 vcc, s12, v51
	v_sub_f32_e32 v42, v42, v2
	v_cndmask_b32_e32 v41, 0, v41, vcc
	v_cmp_nlt_f32_e32 vcc, s13, v51
	v_cndmask_b32_e32 v55, v36, v41, vcc
	v_mul_f32_e32 v41, 0x3fb8aa3b, v42
	v_fma_f32 v50, v42, s11, -v41
	v_rndne_f32_e32 v51, v41
	v_fmac_f32_e32 v50, 0x32a5705f, v42
	v_sub_f32_e32 v41, v41, v51
	v_add_f32_e32 v41, v41, v50
	v_cvt_i32_f32_e32 v56, v51
	v_mov_b32_e32 v51, s9
	v_add_co_u32_e32 v50, vcc, s8, v30
	v_addc_co_u32_e32 v51, vcc, v31, v51, vcc
	global_load_dwordx4 v[50:53], v[50:51], off
	v_exp_f32_e32 v41, v41
	v_cmp_ngt_f32_e32 vcc, s12, v42
	v_sub_f32_e32 v40, v40, v1
	v_sub_f32_e32 v37, v37, v0
	v_ldexp_f32 v41, v41, v56
	v_cndmask_b32_e32 v41, 0, v41, vcc
	v_cmp_nlt_f32_e32 vcc, s13, v42
	v_cndmask_b32_e32 v42, v36, v41, vcc
	v_mul_f32_e32 v41, 0x3fb8aa3b, v40
	v_fma_f32 v56, v40, s11, -v41
	v_rndne_f32_e32 v57, v41
	v_fmac_f32_e32 v56, 0x32a5705f, v40
	v_sub_f32_e32 v41, v41, v57
	v_add_f32_e32 v41, v41, v56
	v_exp_f32_e32 v41, v41
	v_cvt_i32_f32_e32 v56, v57
	v_sub_f32_e32 v57, v39, v3
	v_mul_f32_e32 v39, 0x3fb8aa3b, v37
	v_sub_f32_e32 v58, v38, v2
	v_ldexp_f32 v38, v41, v56
	v_fma_f32 v41, v37, s11, -v39
	v_rndne_f32_e32 v56, v39
	v_fmac_f32_e32 v41, 0x32a5705f, v37
	v_sub_f32_e32 v39, v39, v56
	v_add_f32_e32 v39, v39, v41
	v_exp_f32_e32 v41, v39
	v_cvt_i32_f32_e32 v56, v56
	v_cmp_ngt_f32_e32 vcc, s12, v40
	v_cndmask_b32_e32 v38, 0, v38, vcc
	v_cmp_nlt_f32_e32 vcc, s13, v40
	v_cndmask_b32_e32 v39, v36, v38, vcc
	v_ldexp_f32 v38, v41, v56
	v_cvt_f16_f32_e32 v40, v43
	v_cvt_f16_f32_e32 v41, v42
	;; [unrolled: 1-line block ×4, first 2 shown]
	v_cmp_ngt_f32_e32 vcc, s12, v37
	v_pack_b32_f16 v41, v41, v40
	v_cndmask_b32_e32 v38, 0, v38, vcc
	v_pack_b32_f16 v40, v59, v56
	v_mul_f32_e32 v56, 0x3fb8aa3b, v57
	v_fma_f32 v59, v57, s11, -v56
	v_rndne_f32_e32 v60, v56
	v_fmac_f32_e32 v59, 0x32a5705f, v57
	v_sub_f32_e32 v56, v56, v60
	v_add_f32_e32 v56, v56, v59
	v_cvt_i32_f32_e32 v59, v60
	v_mul_f32_e32 v60, 0x3fb8aa3b, v58
	v_fma_f32 v61, v58, s11, -v60
	v_rndne_f32_e32 v62, v60
	v_fmac_f32_e32 v61, 0x32a5705f, v58
	v_sub_f32_e32 v60, v60, v62
	v_exp_f32_e32 v56, v56
	v_add_f32_e32 v60, v60, v61
	v_exp_f32_e32 v60, v60
	v_cvt_i32_f32_e32 v61, v62
	v_cmp_nlt_f32_e32 vcc, s13, v37
	v_cndmask_b32_e32 v38, v36, v38, vcc
	v_ldexp_f32 v56, v56, v59
	v_cmp_ngt_f32_e32 vcc, s12, v57
	v_cndmask_b32_e32 v59, 0, v56, vcc
	v_ldexp_f32 v56, v60, v61
	v_cmp_ngt_f32_e32 vcc, s12, v58
	v_cndmask_b32_e32 v56, 0, v56, vcc
	v_cmp_nlt_f32_e32 vcc, s13, v58
	v_cndmask_b32_e32 v56, v36, v56, vcc
	v_cmp_nlt_f32_e32 vcc, s13, v57
	v_cndmask_b32_e32 v57, v36, v59, vcc
	v_cvt_f16_f32_e32 v37, v38
	v_pk_fma_f32 v[12:13], v[12:13], v[56:57], v[42:43]
	v_pk_fma_f32 v[8:9], v[8:9], v[38:39], v[54:55]
	v_add_u32_e32 v38, v27, v28
	v_add_u32_e32 v42, 0x3000, v28
	v_cvt_f16_f32_e32 v66, v39
	ds_write_b64 v38, v[40:41]
	s_waitcnt vmcnt(0)
	ds_write_b128 v29, v[50:53]
	s_waitcnt lgkmcnt(0)
	s_barrier
	ds_read2_b64 v[38:41], v42 offset1:32
	ds_read_b128 v[50:53], v27
	v_cvt_f16_f32_e32 v67, v56
	v_cvt_f16_f32_e32 v58, v57
	v_pk_mul_f16 v16, v37, v16 op_sel_hi:[0,1]
	v_pk_mul_f16 v10, v66, v10 op_sel_hi:[0,1]
	s_waitcnt lgkmcnt(0)
	v_pk_mul_f16 v43, v38, v50 op_sel_hi:[1,0]
	v_pk_fma_f16 v21, v37, v21, v43 op_sel_hi:[0,1,1]
	v_pk_mul_f16 v37, v38, v50 op_sel:[0,1]
	v_pk_fma_f16 v20, v66, v20, v37 op_sel_hi:[0,1,1]
	v_pk_mul_f16 v37, v38, v51 op_sel_hi:[1,0]
	v_pk_mul_f16 v6, v67, v6 op_sel_hi:[0,1]
	;; [unrolled: 1-line block ×4, first 2 shown]
	ds_read_b128 v[54:57], v27 offset:16
	ds_read_b128 v[58:61], v27 offset:32
	;; [unrolled: 1-line block ×3, first 2 shown]
	v_pk_fma_f16 v18, v67, v18, v37 op_sel_hi:[0,1,1]
	ds_read2_b64 v[66:69], v42 offset0:64 offset1:96
	v_pk_fma_f16 v17, v38, v51, v17 op_sel:[0,1,0]
	v_pk_fma_f16 v16, v39, v50, v16 op_sel_hi:[1,0,1]
	v_pk_fma_f16 v10, v39, v50, v10 op_sel:[0,1,0]
	v_pk_fma_f16 v6, v39, v51, v6 op_sel_hi:[1,0,1]
	;; [unrolled: 2-line block ×6, first 2 shown]
	v_pk_fma_f16 v15, v41, v53, v15 op_sel:[0,1,0]
	ds_read2_b64 v[38:41], v42 offset0:128 offset1:160
	s_waitcnt lgkmcnt(1)
	v_pk_fma_f16 v17, v66, v55, v17 op_sel:[0,1,0]
	v_pk_fma_f16 v16, v67, v54, v16 op_sel_hi:[1,0,1]
	s_or_b32 s8, s6, 16
	v_pk_fma_f16 v17, v68, v57, v17 op_sel:[0,1,0]
	v_pk_fma_f16 v16, v69, v56, v16 op_sel_hi:[1,0,1]
	s_mul_hi_i32 s9, s8, s15
	s_mul_i32 s8, s8, s15
	v_pk_fma_f16 v21, v66, v54, v21 op_sel_hi:[1,0,1]
	v_pk_fma_f16 v20, v66, v54, v20 op_sel:[0,1,0]
	v_pk_fma_f16 v18, v66, v55, v18 op_sel_hi:[1,0,1]
	v_pk_fma_f16 v10, v67, v54, v10 op_sel:[0,1,0]
	;; [unrolled: 2-line block ×3, first 2 shown]
	s_waitcnt lgkmcnt(0)
	v_pk_fma_f16 v17, v38, v59, v17 op_sel:[0,1,0]
	v_pk_fma_f16 v16, v39, v58, v16 op_sel_hi:[1,0,1]
	s_lshl_b64 s[8:9], s[8:9], 2
	v_pk_fma_f16 v21, v68, v56, v21 op_sel_hi:[1,0,1]
	v_pk_fma_f16 v20, v68, v56, v20 op_sel:[0,1,0]
	v_pk_fma_f16 v18, v68, v57, v18 op_sel_hi:[1,0,1]
	v_pk_fma_f16 v10, v69, v56, v10 op_sel:[0,1,0]
	;; [unrolled: 2-line block ×3, first 2 shown]
	v_pk_fma_f16 v37, v40, v61, v17 op_sel:[0,1,0]
	v_pk_fma_f16 v43, v41, v60, v16 op_sel_hi:[1,0,1]
	v_mov_b32_e32 v17, s9
	v_add_co_u32_e32 v16, vcc, s8, v30
	v_pk_fma_f16 v21, v38, v58, v21 op_sel_hi:[1,0,1]
	v_pk_fma_f16 v20, v38, v58, v20 op_sel:[0,1,0]
	v_pk_fma_f16 v18, v38, v59, v18 op_sel_hi:[1,0,1]
	v_pk_fma_f16 v10, v39, v58, v10 op_sel:[0,1,0]
	;; [unrolled: 2-line block ×3, first 2 shown]
	v_addc_co_u32_e32 v17, vcc, v31, v17, vcc
	v_pk_fma_f16 v21, v40, v60, v21 op_sel_hi:[1,0,1]
	v_pk_fma_f16 v20, v40, v60, v20 op_sel:[0,1,0]
	v_pk_fma_f16 v18, v40, v61, v18 op_sel_hi:[1,0,1]
	v_pk_fma_f16 v10, v41, v60, v10 op_sel:[0,1,0]
	;; [unrolled: 2-line block ×3, first 2 shown]
	ds_read2_b64 v[38:41], v42 offset0:192 offset1:224
	ds_read2_b64 v[50:53], v90 offset1:32
	ds_read2_b64 v[54:57], v90 offset0:64 offset1:96
	ds_read_b128 v[58:61], v27 offset:64
	ds_read_b128 v[66:69], v27 offset:80
	ds_read2_b64 v[70:73], v90 offset0:128 offset1:160
	ds_read2_b64 v[74:77], v90 offset0:192 offset1:224
	ds_read_b128 v[78:81], v27 offset:96
	ds_read_b128 v[82:85], v27 offset:112
	s_waitcnt lgkmcnt(0)
	s_barrier
	global_load_dwordx4 v[86:89], v[16:17], off
	v_pk_fma_f16 v16, v38, v62, v21 op_sel_hi:[1,0,1]
	v_pk_fma_f16 v17, v38, v62, v20 op_sel:[0,1,0]
	v_pk_fma_f16 v18, v38, v63, v18 op_sel_hi:[1,0,1]
	v_pk_fma_f16 v20, v38, v63, v37 op_sel:[0,1,0]
	;; [unrolled: 2-line block ×39, first 2 shown]
	v_pk_fma_f16 v6, v77, v85, v6 op_sel_hi:[1,0,1]
	s_waitcnt vmcnt(0)
	ds_write_b128 v29, v[86:89]
	s_waitcnt lgkmcnt(0)
	s_barrier
	ds_read2_b64 v[38:41], v42 offset1:32
	ds_read_b128 v[50:53], v27 offset:128
	v_pk_fma_f16 v15, v77, v85, v15 op_sel:[0,1,0]
	ds_read_b128 v[54:57], v27 offset:144
	ds_read_b128 v[58:61], v27 offset:160
	;; [unrolled: 1-line block ×3, first 2 shown]
	ds_read2_b64 v[66:69], v42 offset0:64 offset1:96
	s_waitcnt lgkmcnt(4)
	v_pk_fma_f16 v16, v38, v50, v16 op_sel_hi:[1,0,1]
	v_pk_fma_f16 v17, v38, v50, v17 op_sel:[0,1,0]
	v_pk_fma_f16 v18, v38, v51, v18 op_sel_hi:[1,0,1]
	v_pk_fma_f16 v20, v38, v51, v20 op_sel:[0,1,0]
	v_pk_fma_f16 v21, v39, v50, v21 op_sel_hi:[1,0,1]
	v_pk_fma_f16 v10, v39, v50, v10 op_sel:[0,1,0]
	v_pk_fma_f16 v6, v39, v51, v6 op_sel_hi:[1,0,1]
	v_pk_fma_f16 v15, v39, v51, v15 op_sel:[0,1,0]
	v_pk_fma_f16 v16, v40, v52, v16 op_sel_hi:[1,0,1]
	v_pk_fma_f16 v17, v40, v52, v17 op_sel:[0,1,0]
	v_pk_fma_f16 v18, v40, v53, v18 op_sel_hi:[1,0,1]
	v_pk_fma_f16 v20, v40, v53, v20 op_sel:[0,1,0]
	v_pk_fma_f16 v21, v41, v52, v21 op_sel_hi:[1,0,1]
	v_pk_fma_f16 v10, v41, v52, v10 op_sel:[0,1,0]
	v_pk_fma_f16 v6, v41, v53, v6 op_sel_hi:[1,0,1]
	v_pk_fma_f16 v15, v41, v53, v15 op_sel:[0,1,0]
	ds_read2_b64 v[38:41], v42 offset0:128 offset1:160
	ds_read2_b64 v[50:53], v42 offset0:192 offset1:224
	s_waitcnt lgkmcnt(2)
	v_pk_fma_f16 v16, v66, v54, v16 op_sel_hi:[1,0,1]
	v_pk_fma_f16 v17, v66, v54, v17 op_sel:[0,1,0]
	v_pk_fma_f16 v18, v66, v55, v18 op_sel_hi:[1,0,1]
	v_pk_fma_f16 v20, v66, v55, v20 op_sel:[0,1,0]
	;; [unrolled: 2-line block ×8, first 2 shown]
	s_waitcnt lgkmcnt(1)
	v_pk_fma_f16 v16, v38, v58, v16 op_sel_hi:[1,0,1]
	v_pk_fma_f16 v17, v38, v58, v17 op_sel:[0,1,0]
	v_pk_fma_f16 v18, v38, v59, v18 op_sel_hi:[1,0,1]
	v_pk_fma_f16 v20, v38, v59, v20 op_sel:[0,1,0]
	;; [unrolled: 2-line block ×8, first 2 shown]
	ds_read2_b64 v[38:41], v90 offset1:32
	ds_read_b128 v[54:57], v27 offset:192
	s_waitcnt lgkmcnt(2)
	v_pk_fma_f16 v16, v50, v62, v16 op_sel_hi:[1,0,1]
	v_pk_fma_f16 v17, v50, v62, v17 op_sel:[0,1,0]
	v_pk_fma_f16 v18, v50, v63, v18 op_sel_hi:[1,0,1]
	v_pk_fma_f16 v20, v50, v63, v20 op_sel:[0,1,0]
	;; [unrolled: 2-line block ×8, first 2 shown]
	ds_read_b128 v[50:53], v27 offset:208
	ds_read2_b64 v[58:61], v90 offset0:64 offset1:96
	s_waitcnt lgkmcnt(2)
	v_pk_fma_f16 v16, v38, v54, v16 op_sel_hi:[1,0,1]
	v_pk_fma_f16 v17, v38, v54, v17 op_sel:[0,1,0]
	v_pk_fma_f16 v18, v38, v55, v18 op_sel_hi:[1,0,1]
	v_pk_fma_f16 v20, v38, v55, v20 op_sel:[0,1,0]
	;; [unrolled: 2-line block ×8, first 2 shown]
	s_waitcnt lgkmcnt(0)
	v_pk_fma_f16 v16, v58, v50, v16 op_sel_hi:[1,0,1]
	v_pk_fma_f16 v17, v58, v50, v17 op_sel:[0,1,0]
	v_pk_fma_f16 v18, v58, v51, v18 op_sel_hi:[1,0,1]
	v_pk_fma_f16 v20, v58, v51, v20 op_sel:[0,1,0]
	;; [unrolled: 2-line block ×4, first 2 shown]
	ds_read2_b64 v[38:41], v90 offset0:128 offset1:160
	ds_read_b128 v[54:57], v27 offset:224
	v_pk_fma_f16 v16, v60, v52, v16 op_sel_hi:[1,0,1]
	v_pk_fma_f16 v17, v60, v52, v17 op_sel:[0,1,0]
	v_pk_fma_f16 v18, v60, v53, v18 op_sel_hi:[1,0,1]
	v_pk_fma_f16 v20, v60, v53, v20 op_sel:[0,1,0]
	v_pk_fma_f16 v21, v61, v52, v21 op_sel_hi:[1,0,1]
	v_pk_fma_f16 v10, v61, v52, v10 op_sel:[0,1,0]
	v_pk_fma_f16 v6, v61, v53, v6 op_sel_hi:[1,0,1]
	v_pk_fma_f16 v15, v61, v53, v15 op_sel:[0,1,0]
	ds_read_b128 v[50:53], v27 offset:240
	ds_read2_b64 v[58:61], v90 offset0:192 offset1:224
	s_waitcnt lgkmcnt(0)
	s_barrier
	s_load_dword s8, s[0:1], 0x4
	v_pk_fma_f16 v16, v38, v54, v16 op_sel_hi:[1,0,1]
	v_pk_fma_f16 v17, v38, v54, v17 op_sel:[0,1,0]
	v_pk_fma_f16 v18, v38, v55, v18 op_sel_hi:[1,0,1]
	v_pk_fma_f16 v20, v38, v55, v20 op_sel:[0,1,0]
	;; [unrolled: 2-line block ×8, first 2 shown]
	s_waitcnt lgkmcnt(0)
	s_lshl_b32 s8, s8, 5
	v_pk_fma_f16 v16, v58, v50, v16 op_sel_hi:[1,0,1]
	v_pk_fma_f16 v17, v58, v50, v17 op_sel:[0,1,0]
	v_pk_fma_f16 v18, v58, v51, v18 op_sel_hi:[1,0,1]
	v_pk_fma_f16 v37, v58, v51, v20 op_sel:[0,1,0]
	;; [unrolled: 2-line block ×4, first 2 shown]
	s_add_i32 s6, s8, s6
	v_pk_fma_f16 v21, v60, v52, v16 op_sel_hi:[1,0,1]
	v_pk_fma_f16 v20, v60, v52, v17 op_sel:[0,1,0]
	v_pk_fma_f16 v18, v60, v53, v18 op_sel_hi:[1,0,1]
	v_pk_fma_f16 v17, v60, v53, v37 op_sel:[0,1,0]
	;; [unrolled: 2-line block ×3, first 2 shown]
	v_pk_fma_f16 v6, v61, v53, v6 op_sel_hi:[1,0,1]
	s_cmp_ge_i32 s6, s28
	v_pk_fma_f16 v15, v61, v53, v15 op_sel:[0,1,0]
	s_cbranch_scc1 .LBB19_35
; %bb.34:                               ;   in Loop: Header=BB19_17 Depth=1
	v_mov_b32_e32 v37, v0
	v_mov_b32_e32 v40, v1
	;; [unrolled: 1-line block ×4, first 2 shown]
	s_branch .LBB19_17
.LBB19_35:
	v_cmp_lt_i32_e32 vcc, v46, v45
	v_cndmask_b32_e32 v14, v19, v46, vcc
	v_cmp_lt_i32_e32 vcc, v48, v45
	v_cndmask_b32_e32 v22, v19, v48, vcc
	v_cmp_lt_i32_e32 vcc, v49, v45
	v_lshlrev_b32_e32 v14, 2, v14
	v_lshlrev_b32_e32 v26, 2, v22
	v_cndmask_b32_e32 v22, v19, v49, vcc
	v_lshlrev_b32_e32 v27, 2, v22
	ds_bpermute_b32 v22, v14, v8
	ds_bpermute_b32 v23, v14, v9
	;; [unrolled: 1-line block ×4, first 2 shown]
	v_cmp_lt_i32_e32 vcc, v47, v45
	v_cndmask_b32_e32 v14, v19, v47, vcc
	s_waitcnt lgkmcnt(2)
	v_pk_add_f32 v[8:9], v[8:9], v[22:23]
	ds_bpermute_b32 v22, v26, v8
	s_waitcnt lgkmcnt(1)
	v_pk_add_f32 v[12:13], v[12:13], v[24:25]
	ds_bpermute_b32 v23, v26, v9
	ds_bpermute_b32 v24, v26, v12
	;; [unrolled: 1-line block ×3, first 2 shown]
	v_lshlrev_b32_e32 v14, 2, v14
	v_cmp_lt_i32_e32 vcc, v44, v45
	s_waitcnt lgkmcnt(2)
	v_pk_add_f32 v[8:9], v[8:9], v[22:23]
	ds_bpermute_b32 v22, v27, v8
	s_waitcnt lgkmcnt(1)
	v_pk_add_f32 v[12:13], v[12:13], v[24:25]
	ds_bpermute_b32 v23, v27, v9
	ds_bpermute_b32 v24, v27, v12
	;; [unrolled: 1-line block ×3, first 2 shown]
	v_cndmask_b32_e32 v19, v19, v44, vcc
	s_cmp_lg_u64 s[16:17], 0
	s_waitcnt lgkmcnt(2)
	v_pk_add_f32 v[8:9], v[8:9], v[22:23]
	ds_bpermute_b32 v22, v14, v8
	s_waitcnt lgkmcnt(1)
	v_pk_add_f32 v[12:13], v[12:13], v[24:25]
	ds_bpermute_b32 v23, v14, v9
	ds_bpermute_b32 v24, v14, v12
	;; [unrolled: 1-line block ×3, first 2 shown]
	v_lshlrev_b32_e32 v14, 2, v19
	s_cselect_b64 s[0:1], -1, 0
	s_waitcnt lgkmcnt(2)
	v_pk_add_f32 v[8:9], v[8:9], v[22:23]
	ds_bpermute_b32 v22, v14, v8
	s_waitcnt lgkmcnt(1)
	v_pk_add_f32 v[24:25], v[12:13], v[24:25]
	ds_bpermute_b32 v23, v14, v9
	ds_bpermute_b32 v26, v14, v24
	;; [unrolled: 1-line block ×3, first 2 shown]
	s_cmp_eq_u32 s7, 0
	s_cselect_b64 s[8:9], -1, 0
	s_and_b64 s[0:1], s[8:9], s[0:1]
	s_waitcnt lgkmcnt(2)
	v_pk_add_f32 v[12:13], v[8:9], v[22:23]
	s_waitcnt lgkmcnt(0)
	v_pk_add_f32 v[8:9], v[24:25], v[26:27]
	s_and_b64 vcc, exec, s[0:1]
	s_cbranch_vccz .LBB19_37
; %bb.36:
	v_add_u32_e32 v22, s29, v7
	v_ashrrev_i32_e32 v23, 31, v22
	v_lshlrev_b64 v[22:23], 2, v[22:23]
	v_mov_b32_e32 v14, s17
	v_add_co_u32_e32 v22, vcc, s16, v22
	v_addc_co_u32_e32 v23, vcc, v14, v23, vcc
	global_load_dwordx4 v[22:25], v[22:23], off
	v_max_f32_e32 v14, v1, v1
	v_max_f32_e32 v19, v0, v0
	;; [unrolled: 1-line block ×4, first 2 shown]
	s_mov_b32 s6, 0x3fb8aa3b
	s_mov_b32 s0, 0xc2ce8ed0
	;; [unrolled: 1-line block ×3, first 2 shown]
	v_mov_b32_e32 v30, 0x7f800000
	s_waitcnt vmcnt(0)
	v_max_f32_e32 v26, v23, v23
	v_max_f32_e32 v29, v22, v22
	;; [unrolled: 1-line block ×6, first 2 shown]
	v_pk_add_f32 v[0:1], v[0:1], v[26:27] neg_lo:[0,1] neg_hi:[0,1]
	v_max_f32_e32 v29, v28, v32
	v_max_f32_e32 v28, v31, v33
	v_mul_f32_e32 v14, 0x3fb8aa3b, v1
	v_pk_add_f32 v[2:3], v[2:3], v[28:29] neg_lo:[0,1] neg_hi:[0,1]
	v_mul_f32_e32 v19, 0x3fb8aa3b, v0
	v_fma_f32 v35, v1, s6, -v14
	v_rndne_f32_e32 v36, v14
	v_mul_f32_e32 v31, 0x3fb8aa3b, v3
	v_fma_f32 v37, v0, s6, -v19
	v_rndne_f32_e32 v38, v19
	v_fmac_f32_e32 v35, 0x32a5705f, v1
	v_sub_f32_e32 v14, v14, v36
	v_mul_f32_e32 v32, 0x3fb8aa3b, v2
	v_fma_f32 v39, v3, s6, -v31
	v_rndne_f32_e32 v40, v31
	v_fmac_f32_e32 v37, 0x32a5705f, v0
	v_sub_f32_e32 v19, v19, v38
	v_add_f32_e32 v14, v14, v35
	v_fma_f32 v41, v2, s6, -v32
	v_rndne_f32_e32 v42, v32
	v_cvt_i32_f32_e32 v36, v36
	v_fmac_f32_e32 v39, 0x32a5705f, v3
	v_sub_f32_e32 v31, v31, v40
	v_add_f32_e32 v19, v19, v37
	v_exp_f32_e32 v14, v14
	v_cvt_i32_f32_e32 v38, v38
	v_fmac_f32_e32 v41, 0x32a5705f, v2
	v_sub_f32_e32 v32, v32, v42
	v_add_f32_e32 v31, v31, v39
	v_exp_f32_e32 v19, v19
	v_cvt_i32_f32_e32 v40, v40
	v_add_f32_e32 v32, v32, v41
	v_exp_f32_e32 v31, v31
	v_cvt_i32_f32_e32 v42, v42
	v_exp_f32_e32 v32, v32
	v_ldexp_f32 v14, v14, v36
	v_cmp_ngt_f32_e32 vcc, s0, v1
	v_ldexp_f32 v19, v19, v38
	v_cndmask_b32_e32 v14, 0, v14, vcc
	v_cmp_ngt_f32_e32 vcc, s0, v0
	v_ldexp_f32 v31, v31, v40
	v_cndmask_b32_e32 v19, 0, v19, vcc
	;; [unrolled: 3-line block ×3, first 2 shown]
	v_cmp_ngt_f32_e32 vcc, s0, v2
	v_cndmask_b32_e32 v32, 0, v32, vcc
	v_cmp_nlt_f32_e32 vcc, s1, v1
	v_cndmask_b32_e32 v1, v30, v14, vcc
	v_cmp_nlt_f32_e32 vcc, s1, v0
	;; [unrolled: 2-line block ×4, first 2 shown]
	v_cndmask_b32_e32 v2, v30, v32, vcc
	v_cvt_f16_f32_e32 v14, v0
	v_cvt_f16_f32_e32 v19, v1
	v_pk_add_f32 v[24:25], v[24:25], v[28:29] neg_lo:[0,1] neg_hi:[0,1]
	v_cvt_f16_f32_e32 v31, v2
	v_mul_f32_e32 v33, 0x3fb8aa3b, v25
	v_mul_f32_e32 v34, 0x3fb8aa3b, v24
	v_fma_f32 v43, v25, s6, -v33
	v_rndne_f32_e32 v44, v33
	v_fmac_f32_e32 v43, 0x32a5705f, v25
	v_sub_f32_e32 v33, v33, v44
	v_pk_mul_f16 v21, v14, v21 op_sel_hi:[0,1]
	v_pk_mul_f16 v16, v14, v16 op_sel_hi:[0,1]
	;; [unrolled: 1-line block ×4, first 2 shown]
	v_fma_f32 v14, v24, s6, -v34
	v_rndne_f32_e32 v19, v34
	v_add_f32_e32 v33, v33, v43
	v_pk_mul_f16 v18, v31, v18 op_sel_hi:[0,1]
	v_pk_mul_f16 v6, v31, v6 op_sel_hi:[0,1]
	v_fmac_f32_e32 v14, 0x32a5705f, v24
	v_sub_f32_e32 v31, v34, v19
	v_cvt_i32_f32_e32 v44, v44
	v_exp_f32_e32 v33, v33
	v_add_f32_e32 v14, v31, v14
	v_exp_f32_e32 v14, v14
	v_cvt_i32_f32_e32 v19, v19
	v_cvt_f16_f32_e32 v32, v3
	v_pk_add_f32 v[22:23], v[22:23], v[26:27] neg_lo:[0,1] neg_hi:[0,1]
	v_ldexp_f32 v33, v33, v44
	v_cmp_ngt_f32_e32 vcc, s0, v25
	v_cndmask_b32_e32 v31, 0, v33, vcc
	v_cmp_nlt_f32_e32 vcc, s1, v25
	v_ldexp_f32 v14, v14, v19
	v_mul_f32_e32 v19, 0x3fb8aa3b, v23
	v_pk_mul_f16 v17, v32, v17 op_sel_hi:[0,1]
	v_pk_mul_f16 v15, v32, v15 op_sel_hi:[0,1]
	v_cndmask_b32_e32 v25, v30, v31, vcc
	v_fma_f32 v31, v23, s6, -v19
	v_rndne_f32_e32 v32, v19
	v_fmac_f32_e32 v31, 0x32a5705f, v23
	v_sub_f32_e32 v19, v19, v32
	v_add_f32_e32 v19, v19, v31
	v_exp_f32_e32 v19, v19
	v_cvt_i32_f32_e32 v31, v32
	v_cmp_ngt_f32_e32 vcc, s0, v24
	v_cndmask_b32_e32 v14, 0, v14, vcc
	v_cmp_nlt_f32_e32 vcc, s1, v24
	v_cndmask_b32_e32 v24, v30, v14, vcc
	v_ldexp_f32 v14, v19, v31
	v_mul_f32_e32 v19, 0x3fb8aa3b, v22
	v_fma_f32 v31, v22, s6, -v19
	v_rndne_f32_e32 v32, v19
	v_fmac_f32_e32 v31, 0x32a5705f, v22
	v_sub_f32_e32 v19, v19, v32
	v_add_f32_e32 v19, v19, v31
	v_exp_f32_e32 v19, v19
	v_cvt_i32_f32_e32 v31, v32
	v_cmp_ngt_f32_e32 vcc, s0, v23
	v_cndmask_b32_e32 v14, 0, v14, vcc
	v_cmp_nlt_f32_e32 vcc, s1, v23
	v_cndmask_b32_e32 v23, v30, v14, vcc
	v_ldexp_f32 v14, v19, v31
	v_cmp_ngt_f32_e32 vcc, s0, v22
	v_cndmask_b32_e32 v14, 0, v14, vcc
	v_cmp_nlt_f32_e32 vcc, s1, v22
	v_cndmask_b32_e32 v22, v30, v14, vcc
	v_pk_fma_f32 v[8:9], v[8:9], v[2:3], v[24:25]
	v_pk_fma_f32 v[12:13], v[12:13], v[0:1], v[22:23]
	v_pk_mov_b32 v[0:1], v[26:27], v[26:27] op_sel:[0,1]
	v_pk_mov_b32 v[2:3], v[28:29], v[28:29] op_sel:[0,1]
.LBB19_37:
	v_cmp_gt_i32_e32 vcc, s2, v5
	s_and_saveexec_b64 s[0:1], vcc
	s_cbranch_execz .LBB19_54
; %bb.38:
	s_load_dword s6, s[4:5], 0xd4
	v_mov_b32_e32 v14, 1.0
	s_waitcnt lgkmcnt(0)
	s_cmp_lg_u32 s6, 1
	s_cselect_b64 s[0:1], -1, 0
	s_cmp_eq_u32 s6, 1
	s_cselect_b64 s[4:5], -1, 0
	s_and_b64 vcc, exec, s[0:1]
	s_cbranch_vccnz .LBB19_40
; %bb.39:
	v_div_scale_f32 v14, s[8:9], v12, v12, 1.0
	v_rcp_f32_e32 v19, v14
	v_div_scale_f32 v22, vcc, 1.0, v12, 1.0
	v_fma_f32 v23, -v14, v19, 1.0
	v_fmac_f32_e32 v19, v23, v19
	v_mul_f32_e32 v23, v22, v19
	v_fma_f32 v24, -v14, v23, v22
	v_fmac_f32_e32 v23, v24, v19
	v_fma_f32 v14, -v14, v23, v22
	v_div_fmas_f32 v14, v14, v19, v23
	v_div_fixup_f32 v14, v14, v12, 1.0
.LBB19_40:
	s_mul_i32 s33, s33, s2
	v_add_u32_e32 v5, s33, v5
	v_mul_lo_u32 v5, v5, s3
	v_add3_u32 v5, s29, v7, v5
	v_cmp_eq_u32_e32 vcc, 0, v4
	v_mul_lo_u32 v4, s6, v5
	v_add_u32_e32 v4, s7, v4
	v_cvt_f32_f16_sdwa v25, v21 dst_sel:DWORD dst_unused:UNUSED_PAD src0_sel:WORD_1
	v_cvt_f32_f16_e32 v24, v21
	v_cvt_f32_f16_sdwa v27, v16 dst_sel:DWORD dst_unused:UNUSED_PAD src0_sel:WORD_1
	v_cvt_f32_f16_e32 v26, v16
	v_lshl_add_u32 v22, v4, 7, v11
	v_mov_b32_e32 v23, 0
	v_lshlrev_b64 v[22:23], 2, v[22:23]
	s_and_b64 s[2:3], vcc, s[0:1]
	v_mov_b32_e32 v5, s21
	v_add_co_u32_e32 v28, vcc, s20, v22
	v_addc_co_u32_e32 v29, vcc, v5, v23, vcc
	v_pk_mul_f32 v[22:23], v[14:15], v[24:25] op_sel_hi:[0,1]
	v_pk_mul_f32 v[24:25], v[14:15], v[26:27] op_sel_hi:[0,1]
	global_store_dwordx4 v[28:29], v[22:25], off
	s_and_saveexec_b64 s[0:1], s[2:3]
	s_cbranch_execz .LBB19_42
; %bb.41:
	v_ashrrev_i32_e32 v5, 31, v4
	v_lshlrev_b64 v[22:23], 3, v[4:5]
	v_mov_b32_e32 v5, s23
	v_add_co_u32_e32 v22, vcc, s22, v22
	v_addc_co_u32_e32 v23, vcc, v5, v23, vcc
	v_mov_b32_e32 v24, v0
	v_mov_b32_e32 v25, v12
	global_store_dwordx2 v[22:23], v[24:25], off
.LBB19_42:
	s_or_b64 exec, exec, s[0:1]
	v_cndmask_b32_e64 v0, 0, 1, s[4:5]
	v_cmp_ne_u32_e64 s[0:1], 1, v0
	s_andn2_b64 vcc, exec, s[4:5]
	v_mov_b32_e32 v0, 1.0
	s_cbranch_vccnz .LBB19_44
; %bb.43:
	v_div_scale_f32 v0, s[4:5], v13, v13, 1.0
	v_rcp_f32_e32 v5, v0
	v_div_scale_f32 v7, vcc, 1.0, v13, 1.0
	v_fma_f32 v12, -v0, v5, 1.0
	v_fmac_f32_e32 v5, v12, v5
	v_mul_f32_e32 v12, v7, v5
	v_fma_f32 v14, -v0, v12, v7
	v_fmac_f32_e32 v12, v14, v5
	v_fma_f32 v0, -v0, v12, v7
	v_div_fmas_f32 v0, v0, v5, v12
	v_div_fixup_f32 v0, v0, v13, 1.0
.LBB19_44:
	v_add_u32_e32 v4, s6, v4
	v_cvt_f32_f16_sdwa v21, v20 dst_sel:DWORD dst_unused:UNUSED_PAD src0_sel:WORD_1
	v_cvt_f32_f16_e32 v20, v20
	v_cvt_f32_f16_sdwa v25, v10 dst_sel:DWORD dst_unused:UNUSED_PAD src0_sel:WORD_1
	v_cvt_f32_f16_e32 v24, v10
	v_lshl_add_u32 v22, v4, 7, v11
	v_mov_b32_e32 v23, 0
	v_lshlrev_b64 v[22:23], 2, v[22:23]
	v_mov_b32_e32 v5, s21
	v_add_co_u32_e32 v26, vcc, s20, v22
	v_addc_co_u32_e32 v27, vcc, v5, v23, vcc
	v_pk_mul_f32 v[20:21], v[0:1], v[20:21] op_sel_hi:[0,1]
	v_pk_mul_f32 v[22:23], v[0:1], v[24:25] op_sel_hi:[0,1]
	global_store_dwordx4 v[26:27], v[20:23], off
	s_and_saveexec_b64 s[4:5], s[2:3]
	s_cbranch_execz .LBB19_46
; %bb.45:
	v_ashrrev_i32_e32 v5, 31, v4
	v_lshlrev_b64 v[20:21], 3, v[4:5]
	v_mov_b32_e32 v0, s23
	v_add_co_u32_e32 v20, vcc, s22, v20
	v_addc_co_u32_e32 v21, vcc, v0, v21, vcc
	v_mov_b32_e32 v12, v1
	global_store_dwordx2 v[20:21], v[12:13], off
.LBB19_46:
	s_or_b64 exec, exec, s[4:5]
	s_and_b64 vcc, exec, s[0:1]
	v_mov_b32_e32 v10, 1.0
	s_cbranch_vccnz .LBB19_48
; %bb.47:
	v_div_scale_f32 v0, s[4:5], v8, v8, 1.0
	v_rcp_f32_e32 v1, v0
	v_div_scale_f32 v5, vcc, 1.0, v8, 1.0
	v_fma_f32 v7, -v0, v1, 1.0
	v_fmac_f32_e32 v1, v7, v1
	v_mul_f32_e32 v7, v5, v1
	v_fma_f32 v10, -v0, v7, v5
	v_fmac_f32_e32 v7, v10, v1
	v_fma_f32 v0, -v0, v7, v5
	v_div_fmas_f32 v0, v0, v1, v7
	v_div_fixup_f32 v10, v0, v8, 1.0
.LBB19_48:
	v_add_u32_e32 v0, s6, v4
	v_cvt_f32_f16_sdwa v13, v18 dst_sel:DWORD dst_unused:UNUSED_PAD src0_sel:WORD_1
	v_cvt_f32_f16_e32 v12, v18
	v_cvt_f32_f16_sdwa v7, v6 dst_sel:DWORD dst_unused:UNUSED_PAD src0_sel:WORD_1
	v_cvt_f32_f16_e32 v6, v6
	v_lshl_add_u32 v4, v0, 7, v11
	v_mov_b32_e32 v5, 0
	v_lshlrev_b64 v[4:5], 2, v[4:5]
	v_mov_b32_e32 v1, s21
	v_add_co_u32_e32 v18, vcc, s20, v4
	v_addc_co_u32_e32 v19, vcc, v1, v5, vcc
	v_pk_mul_f32 v[4:5], v[10:11], v[12:13] op_sel_hi:[0,1]
	v_pk_mul_f32 v[6:7], v[10:11], v[6:7] op_sel_hi:[0,1]
	global_store_dwordx4 v[18:19], v[4:7], off
	s_and_saveexec_b64 s[4:5], s[2:3]
	s_cbranch_execz .LBB19_50
; %bb.49:
	v_ashrrev_i32_e32 v1, 31, v0
	v_lshlrev_b64 v[4:5], 3, v[0:1]
	v_mov_b32_e32 v1, s23
	v_add_co_u32_e32 v4, vcc, s22, v4
	v_addc_co_u32_e32 v5, vcc, v1, v5, vcc
	v_mov_b32_e32 v6, v2
	v_mov_b32_e32 v7, v8
	global_store_dwordx2 v[4:5], v[6:7], off
.LBB19_50:
	s_or_b64 exec, exec, s[4:5]
	s_and_b64 vcc, exec, s[0:1]
	v_mov_b32_e32 v2, 1.0
	s_cbranch_vccnz .LBB19_52
; %bb.51:
	v_div_scale_f32 v1, s[0:1], v9, v9, 1.0
	v_rcp_f32_e32 v2, v1
	v_div_scale_f32 v4, vcc, 1.0, v9, 1.0
	v_fma_f32 v5, -v1, v2, 1.0
	v_fmac_f32_e32 v2, v5, v2
	v_mul_f32_e32 v5, v4, v2
	v_fma_f32 v6, -v1, v5, v4
	v_fmac_f32_e32 v5, v6, v2
	v_fma_f32 v1, -v1, v5, v4
	v_div_fmas_f32 v1, v1, v2, v5
	v_div_fixup_f32 v2, v1, v9, 1.0
.LBB19_52:
	v_add_u32_e32 v0, s6, v0
	v_lshl_add_u32 v4, v0, 7, v11
	v_cvt_f32_f16_sdwa v7, v17 dst_sel:DWORD dst_unused:UNUSED_PAD src0_sel:WORD_1
	v_cvt_f32_f16_e32 v6, v17
	v_cvt_f32_f16_sdwa v11, v15 dst_sel:DWORD dst_unused:UNUSED_PAD src0_sel:WORD_1
	v_cvt_f32_f16_e32 v10, v15
	v_mov_b32_e32 v5, 0
	v_lshlrev_b64 v[4:5], 2, v[4:5]
	v_mov_b32_e32 v1, s21
	v_add_co_u32_e32 v12, vcc, s20, v4
	v_addc_co_u32_e32 v13, vcc, v1, v5, vcc
	v_pk_mul_f32 v[4:5], v[2:3], v[6:7] op_sel_hi:[0,1]
	v_pk_mul_f32 v[6:7], v[2:3], v[10:11] op_sel_hi:[0,1]
	global_store_dwordx4 v[12:13], v[4:7], off
	s_and_b64 exec, exec, s[2:3]
	s_cbranch_execz .LBB19_54
; %bb.53:
	v_ashrrev_i32_e32 v1, 31, v0
	v_lshlrev_b64 v[0:1], 3, v[0:1]
	v_mov_b32_e32 v2, s23
	v_add_co_u32_e32 v0, vcc, s22, v0
	v_addc_co_u32_e32 v1, vcc, v2, v1, vcc
	v_mov_b32_e32 v8, v3
	global_store_dwordx2 v[0:1], v[8:9], off
.LBB19_54:
	s_endpgm
	.section	.rodata,"a",@progbits
	.p2align	6, 0x0
	.amdhsa_kernel _ZL15flash_attn_tileILi192ELi128ELi2ELi16ELb1EEvPKcS1_S1_S1_S1_PKiPfP15HIP_vector_typeIfLj2EEffffjfiS5_IjLj3EEiiiiiiiiiiiliiliiiiil
		.amdhsa_group_segment_fixed_size 18944
		.amdhsa_private_segment_fixed_size 0
		.amdhsa_kernarg_size 464
		.amdhsa_user_sgpr_count 6
		.amdhsa_user_sgpr_private_segment_buffer 1
		.amdhsa_user_sgpr_dispatch_ptr 0
		.amdhsa_user_sgpr_queue_ptr 0
		.amdhsa_user_sgpr_kernarg_segment_ptr 1
		.amdhsa_user_sgpr_dispatch_id 0
		.amdhsa_user_sgpr_flat_scratch_init 0
		.amdhsa_user_sgpr_kernarg_preload_length 0
		.amdhsa_user_sgpr_kernarg_preload_offset 0
		.amdhsa_user_sgpr_private_segment_size 0
		.amdhsa_uses_dynamic_stack 0
		.amdhsa_system_sgpr_private_segment_wavefront_offset 0
		.amdhsa_system_sgpr_workgroup_id_x 1
		.amdhsa_system_sgpr_workgroup_id_y 1
		.amdhsa_system_sgpr_workgroup_id_z 1
		.amdhsa_system_sgpr_workgroup_info 0
		.amdhsa_system_vgpr_workitem_id 1
		.amdhsa_next_free_vgpr 91
		.amdhsa_next_free_sgpr 39
		.amdhsa_accum_offset 92
		.amdhsa_reserve_vcc 1
		.amdhsa_reserve_flat_scratch 0
		.amdhsa_float_round_mode_32 0
		.amdhsa_float_round_mode_16_64 0
		.amdhsa_float_denorm_mode_32 3
		.amdhsa_float_denorm_mode_16_64 3
		.amdhsa_dx10_clamp 1
		.amdhsa_ieee_mode 1
		.amdhsa_fp16_overflow 0
		.amdhsa_tg_split 0
		.amdhsa_exception_fp_ieee_invalid_op 0
		.amdhsa_exception_fp_denorm_src 0
		.amdhsa_exception_fp_ieee_div_zero 0
		.amdhsa_exception_fp_ieee_overflow 0
		.amdhsa_exception_fp_ieee_underflow 0
		.amdhsa_exception_fp_ieee_inexact 0
		.amdhsa_exception_int_div_zero 0
	.end_amdhsa_kernel
	.section	.text._ZL15flash_attn_tileILi192ELi128ELi2ELi16ELb1EEvPKcS1_S1_S1_S1_PKiPfP15HIP_vector_typeIfLj2EEffffjfiS5_IjLj3EEiiiiiiiiiiiliiliiiiil,"axG",@progbits,_ZL15flash_attn_tileILi192ELi128ELi2ELi16ELb1EEvPKcS1_S1_S1_S1_PKiPfP15HIP_vector_typeIfLj2EEffffjfiS5_IjLj3EEiiiiiiiiiiiliiliiiiil,comdat
.Lfunc_end19:
	.size	_ZL15flash_attn_tileILi192ELi128ELi2ELi16ELb1EEvPKcS1_S1_S1_S1_PKiPfP15HIP_vector_typeIfLj2EEffffjfiS5_IjLj3EEiiiiiiiiiiiliiliiiiil, .Lfunc_end19-_ZL15flash_attn_tileILi192ELi128ELi2ELi16ELb1EEvPKcS1_S1_S1_S1_PKiPfP15HIP_vector_typeIfLj2EEffffjfiS5_IjLj3EEiiiiiiiiiiiliiliiiiil
                                        ; -- End function
	.section	.AMDGPU.csdata,"",@progbits
; Kernel info:
; codeLenInByte = 13668
; NumSgprs: 43
; NumVgprs: 91
; NumAgprs: 0
; TotalNumVgprs: 91
; ScratchSize: 0
; MemoryBound: 0
; FloatMode: 240
; IeeeMode: 1
; LDSByteSize: 18944 bytes/workgroup (compile time only)
; SGPRBlocks: 5
; VGPRBlocks: 11
; NumSGPRsForWavesPerEU: 43
; NumVGPRsForWavesPerEU: 91
; AccumOffset: 92
; Occupancy: 3
; WaveLimiterHint : 1
; COMPUTE_PGM_RSRC2:SCRATCH_EN: 0
; COMPUTE_PGM_RSRC2:USER_SGPR: 6
; COMPUTE_PGM_RSRC2:TRAP_HANDLER: 0
; COMPUTE_PGM_RSRC2:TGID_X_EN: 1
; COMPUTE_PGM_RSRC2:TGID_Y_EN: 1
; COMPUTE_PGM_RSRC2:TGID_Z_EN: 1
; COMPUTE_PGM_RSRC2:TIDIG_COMP_CNT: 1
; COMPUTE_PGM_RSRC3_GFX90A:ACCUM_OFFSET: 22
; COMPUTE_PGM_RSRC3_GFX90A:TG_SPLIT: 0
	.section	.text._ZL15flash_attn_tileILi192ELi128ELi1ELi16ELb1EEvPKcS1_S1_S1_S1_PKiPfP15HIP_vector_typeIfLj2EEffffjfiS5_IjLj3EEiiiiiiiiiiiliiliiiiil,"axG",@progbits,_ZL15flash_attn_tileILi192ELi128ELi1ELi16ELb1EEvPKcS1_S1_S1_S1_PKiPfP15HIP_vector_typeIfLj2EEffffjfiS5_IjLj3EEiiiiiiiiiiiliiliiiiil,comdat
	.globl	_ZL15flash_attn_tileILi192ELi128ELi1ELi16ELb1EEvPKcS1_S1_S1_S1_PKiPfP15HIP_vector_typeIfLj2EEffffjfiS5_IjLj3EEiiiiiiiiiiiliiliiiiil ; -- Begin function _ZL15flash_attn_tileILi192ELi128ELi1ELi16ELb1EEvPKcS1_S1_S1_S1_PKiPfP15HIP_vector_typeIfLj2EEffffjfiS5_IjLj3EEiiiiiiiiiiiliiliiiiil
	.p2align	8
	.type	_ZL15flash_attn_tileILi192ELi128ELi1ELi16ELb1EEvPKcS1_S1_S1_S1_PKiPfP15HIP_vector_typeIfLj2EEffffjfiS5_IjLj3EEiiiiiiiiiiiliiliiiiil,@function
_ZL15flash_attn_tileILi192ELi128ELi1ELi16ELb1EEvPKcS1_S1_S1_S1_PKiPfP15HIP_vector_typeIfLj2EEffffjfiS5_IjLj3EEiiiiiiiiiiiliiliiiiil: ; @_ZL15flash_attn_tileILi192ELi128ELi1ELi16ELb1EEvPKcS1_S1_S1_S1_PKiPfP15HIP_vector_typeIfLj2EEffffjfiS5_IjLj3EEiiiiiiiiiiiliiliiiiil
; %bb.0:
	s_load_dwordx4 s[0:3], s[4:5], 0x5c
	s_load_dwordx2 s[28:29], s[4:5], 0x80
	s_load_dwordx2 s[34:35], s[4:5], 0xb8
	s_mov_b64 s[30:31], 0
	s_waitcnt lgkmcnt(0)
	s_ashr_i32 s9, s3, 31
	s_lshr_b32 s9, s9, 28
	s_add_i32 s9, s3, s9
	s_ashr_i32 s9, s9, 4
	v_cvt_f32_u32_e32 v1, s9
	s_sub_i32 s10, 0, s9
	v_rcp_iflag_f32_e32 v1, v1
	v_mul_f32_e32 v1, 0x4f7ffffe, v1
	v_cvt_u32_f32_e32 v1, v1
	v_readfirstlane_b32 s11, v1
	s_mul_i32 s10, s10, s11
	s_mul_hi_u32 s10, s11, s10
	s_add_i32 s11, s11, s10
	s_mul_hi_u32 s10, s8, s11
	s_mul_i32 s11, s10, s9
	s_sub_i32 s11, s8, s11
	s_add_i32 s12, s10, 1
	s_sub_i32 s13, s11, s9
	s_cmp_ge_u32 s11, s9
	s_cselect_b32 s10, s12, s10
	s_cselect_b32 s11, s13, s11
	s_add_i32 s12, s10, 1
	s_cmp_ge_u32 s11, s9
	s_cselect_b32 s33, s12, s10
	s_abs_i32 s9, s29
	v_cvt_f32_u32_e32 v1, s9
	s_lshl_b32 s8, s8, 4
	s_mul_i32 s12, s33, s3
	s_xor_b32 s10, s3, s29
	v_rcp_iflag_f32_e32 v1, v1
	s_sub_i32 s13, 0, s9
	s_sub_i32 s29, s8, s12
	s_abs_i32 s11, s3
	v_mul_f32_e32 v1, 0x4f7ffffe, v1
	v_cvt_u32_f32_e32 v1, v1
	s_ashr_i32 s10, s10, 31
	v_readfirstlane_b32 s8, v1
	s_mul_i32 s13, s13, s8
	s_mul_hi_u32 s12, s8, s13
	s_add_i32 s8, s8, s12
	s_mul_hi_u32 s8, s11, s8
	s_mul_i32 s12, s8, s9
	s_sub_i32 s11, s11, s12
	s_add_i32 s13, s8, 1
	s_sub_i32 s12, s11, s9
	s_cmp_ge_u32 s11, s9
	s_cselect_b32 s8, s13, s8
	s_cselect_b32 s11, s12, s11
	s_add_i32 s12, s8, 1
	s_cmp_ge_u32 s11, s9
	s_cselect_b32 s8, s12, s8
	s_xor_b32 s8, s8, s10
	s_sub_i32 s37, s8, s10
	s_abs_i32 s36, s37
	v_cvt_f32_u32_e32 v1, s36
	s_load_dwordx16 s[8:23], s[4:5], 0x0
	v_rcp_iflag_f32_e32 v1, v1
	s_waitcnt lgkmcnt(0)
	s_cmp_eq_u64 s[14:15], 0
	v_mul_f32_e32 v1, 0x4f7ffffe, v1
	v_cvt_u32_f32_e32 v1, v1
	v_readfirstlane_b32 s38, v1
	s_cbranch_scc1 .LBB20_2
; %bb.1:
	s_abs_i32 s26, s34
	v_cvt_f32_u32_e32 v1, s26
	s_sub_i32 s31, 0, s26
	s_abs_i32 s30, s33
	s_ashr_i32 s27, s33, 31
	v_rcp_iflag_f32_e32 v1, v1
	s_load_dwordx2 s[24:25], s[4:5], 0xc8
	v_mul_f32_e32 v1, 0x4f7ffffe, v1
	v_cvt_u32_f32_e32 v1, v1
	v_readfirstlane_b32 s34, v1
	s_mul_i32 s31, s31, s34
	s_mul_hi_u32 s31, s34, s31
	s_add_i32 s34, s34, s31
	s_mul_hi_u32 s31, s30, s34
	s_mul_i32 s31, s31, s26
	s_sub_i32 s30, s30, s31
	s_sub_i32 s31, s30, s26
	s_cmp_ge_u32 s30, s26
	s_cselect_b32 s30, s31, s30
	s_sub_i32 s31, s30, s26
	s_cmp_ge_u32 s30, s26
	s_cselect_b32 s26, s31, s30
	s_xor_b32 s26, s26, s27
	s_sub_i32 s26, s26, s27
	s_ashr_i32 s27, s26, 31
	s_waitcnt lgkmcnt(0)
	s_mul_i32 s25, s26, s25
	s_mul_hi_u32 s30, s26, s24
	s_add_i32 s25, s30, s25
	s_mul_i32 s27, s27, s24
	s_add_i32 s25, s25, s27
	s_mul_i32 s26, s26, s24
	s_add_u32 s30, s14, s26
	s_addc_u32 s31, s15, s25
.LBB20_2:
	s_load_dwordx4 s[24:27], s[4:5], 0x70
	v_bfe_u32 v9, v0, 10, 10
	v_lshrrev_b32_e32 v1, 3, v9
	v_add_u32_e32 v1, s6, v1
	v_mul_hi_u32 v2, s0, v1
	s_waitcnt lgkmcnt(0)
	s_mul_i32 s14, s33, s26
	s_ashr_i32 s26, s14, 31
	s_mul_i32 s15, s29, s25
	s_add_u32 s8, s8, s14
	v_add_u32_e32 v2, v1, v2
	s_addc_u32 s9, s9, s26
	s_ashr_i32 s14, s15, 31
	v_lshrrev_b32_e32 v2, s1, v2
	s_add_u32 s8, s8, s15
	v_mul_lo_u32 v2, v2, s2
	s_addc_u32 s9, s9, s14
	v_sub_u32_e32 v6, v1, v2
	s_ashr_i32 s14, s24, 31
	v_mov_b32_e32 v2, s24
	v_alignbit_b32 v2, s14, v2, 2
	v_mad_u64_u32 v[2:3], s[0:1], v2, v6, 0
	v_mov_b32_e32 v4, v3
	s_lshr_b32 s0, s14, 2
	v_mad_u64_u32 v[4:5], s[0:1], s0, v6, v[4:5]
	v_mov_b32_e32 v3, v4
	v_lshlrev_b64 v[2:3], 2, v[2:3]
	v_and_b32_e32 v0, 0x3ff, v0
	v_mov_b32_e32 v4, s9
	v_add_co_u32_e32 v2, vcc, s8, v2
	v_addc_co_u32_e32 v3, vcc, v4, v3, vcc
	v_lshlrev_b32_e32 v4, 4, v0
	v_lshlrev_b32_e32 v8, 1, v9
	s_ashr_i32 s15, s25, 31
	v_add_co_u32_e32 v4, vcc, v2, v4
	v_mov_b32_e32 v2, s25
	v_and_b32_e32 v11, 14, v8
	v_alignbit_b32 v2, s15, v2, 2
	v_addc_co_u32_e32 v5, vcc, 0, v3, vcc
	v_mad_u64_u32 v[2:3], s[0:1], v2, v11, 0
	v_mov_b32_e32 v10, v3
	s_lshr_b32 s0, s15, 2
	v_mad_u64_u32 v[12:13], s[0:1], s0, v11, v[10:11]
	v_mov_b32_e32 v3, v12
	v_lshlrev_b64 v[2:3], 2, v[2:3]
	v_add_co_u32_e32 v2, vcc, v4, v2
	v_addc_co_u32_e32 v3, vcc, v5, v3, vcc
	global_load_dwordx4 v[12:15], v[2:3], off
	s_load_dword s8, s[4:5], 0x40
	v_lshlrev_b32_e32 v26, 1, v0
	v_mul_u32_u24_e32 v7, 0xc0, v9
	s_mov_b32 s14, s25
	v_add_lshl_u32 v7, v7, v26, 2
	s_waitcnt lgkmcnt(0)
	s_mov_b32 s9, s8
	s_lshr_b64 s[0:1], s[14:15], 2
	v_cmp_gt_u32_e32 vcc, 16, v0
	s_waitcnt vmcnt(0)
	v_pk_mul_f32 v[12:13], v[12:13], s[8:9] op_sel_hi:[1,0]
	v_pk_mul_f32 v[14:15], v[14:15], s[8:9] op_sel_hi:[1,0]
	v_cvt_f16_f32_e32 v10, v13
	v_cvt_f16_f32_e32 v13, v15
	;; [unrolled: 1-line block ×4, first 2 shown]
	v_pack_b32_f16 v13, v14, v13
	v_pack_b32_f16 v12, v12, v10
	ds_write_b64 v7, v[12:13]
	s_and_saveexec_b64 s[14:15], vcc
	s_cbranch_execz .LBB20_4
; %bb.3:
	global_load_dwordx4 v[12:15], v[2:3], off offset:512
	s_waitcnt vmcnt(0)
	v_pk_mul_f32 v[2:3], v[12:13], s[8:9]
	v_pk_mul_f32 v[12:13], v[14:15], s[8:9]
	v_cvt_f16_f32_e32 v3, v3
	v_cvt_f16_f32_e32 v2, v2
	;; [unrolled: 1-line block ×4, first 2 shown]
	v_pack_b32_f16 v2, v2, v3
	v_pack_b32_f16 v3, v12, v10
	ds_write_b64 v7, v[2:3] offset:256
.LBB20_4:
	s_or_b64 exec, exec, s[14:15]
	v_or_b32_e32 v7, 1, v8
	v_and_b32_e32 v12, 15, v7
	v_mad_u64_u32 v[2:3], s[14:15], s0, v12, 0
	v_mov_b32_e32 v10, v3
	v_mad_u64_u32 v[12:13], s[0:1], s1, v12, v[10:11]
	v_mov_b32_e32 v3, v12
	v_lshlrev_b64 v[2:3], 2, v[2:3]
	v_add_co_u32_e64 v2, s[0:1], v4, v2
	v_addc_co_u32_e64 v3, s[0:1], v5, v3, s[0:1]
	global_load_dwordx4 v[12:15], v[2:3], off
	s_waitcnt vmcnt(0)
	v_pk_mul_f32 v[4:5], v[12:13], s[8:9]
	v_pk_mul_f32 v[12:13], v[14:15], s[8:9]
	v_cvt_f16_f32_e32 v5, v5
	v_cvt_f16_f32_e32 v10, v13
	;; [unrolled: 1-line block ×4, first 2 shown]
	v_mul_u32_u24_e32 v4, 0x60, v7
	v_add_lshl_u32 v4, v4, v26, 2
	v_pack_b32_f16 v13, v12, v10
	v_pack_b32_f16 v12, v14, v5
	ds_write_b64 v4, v[12:13]
	s_and_saveexec_b64 s[0:1], vcc
	s_cbranch_execz .LBB20_6
; %bb.5:
	global_load_dwordx4 v[12:15], v[2:3], off offset:512
	s_waitcnt vmcnt(0)
	v_pk_mul_f32 v[2:3], v[12:13], s[8:9]
	v_pk_mul_f32 v[12:13], v[14:15], s[8:9]
	v_cvt_f16_f32_e32 v3, v3
	v_cvt_f16_f32_e32 v2, v2
	;; [unrolled: 1-line block ×4, first 2 shown]
	v_pack_b32_f16 v2, v2, v3
	v_pack_b32_f16 v3, v7, v5
	ds_write_b64 v4, v[2:3] offset:256
.LBB20_6:
	s_or_b64 exec, exec, s[0:1]
	s_cmp_eq_u64 s[18:19], 0
	s_waitcnt lgkmcnt(0)
	s_barrier
	s_cbranch_scc1 .LBB20_8
; %bb.7:
	s_load_dword s0, s[4:5], 0xd0
	s_mov_b32 s1, 0
	s_waitcnt lgkmcnt(0)
	s_mul_i32 s0, s0, s33
	s_add_i32 s0, s0, s6
	s_lshl_b64 s[0:1], s[0:1], 2
	s_add_u32 s0, s18, s0
	s_addc_u32 s1, s19, s1
	s_load_dword s28, s[0:1], 0x0
.LBB20_8:
	s_lshl_b32 s6, s7, 5
	s_waitcnt lgkmcnt(0)
	s_cmp_lt_i32 s6, s28
	v_mbcnt_lo_u32_b32 v31, -1, 0
	s_cbranch_scc1 .LBB20_10
; %bb.9:
	v_mbcnt_hi_u32_b32 v15, -1, v31
	v_and_b32_e32 v2, 0x60, v15
	s_mov_b32 s0, 0xfeffffff
	s_mov_b32 s14, 0
	v_add_u32_e32 v34, 32, v2
	v_xor_b32_e32 v35, 16, v15
	v_xor_b32_e32 v33, 8, v15
	;; [unrolled: 1-line block ×5, first 2 shown]
	s_mov_b32 s1, s0
	s_mov_b64 s[8:9], 0
	s_branch .LBB20_11
.LBB20_10:
	s_mov_b64 s[8:9], -1
                                        ; implicit-def: $sgpr14
                                        ; implicit-def: $sgpr0_sgpr1
                                        ; implicit-def: $vgpr15
                                        ; implicit-def: $vgpr34
                                        ; implicit-def: $vgpr35
                                        ; implicit-def: $vgpr33
                                        ; implicit-def: $vgpr36
                                        ; implicit-def: $vgpr37
                                        ; implicit-def: $vgpr38
.LBB20_11:
	v_lshlrev_b32_e32 v10, 2, v0
	s_andn2_b64 vcc, exec, s[8:9]
	v_mov_b32_e32 v5, s14
	v_pk_mov_b32 v[2:3], s[0:1], s[0:1] op_sel:[0,1]
	v_mov_b32_e32 v14, s14
	v_mov_b32_e32 v4, s14
	;; [unrolled: 1-line block ×5, first 2 shown]
	s_cbranch_vccnz .LBB20_22
; %bb.12:
	s_sub_i32 s0, 0, s36
	s_mul_i32 s0, s0, s38
	s_mul_hi_u32 s0, s38, s0
	s_add_i32 s38, s38, s0
	s_load_dwordx4 s[24:27], s[4:5], 0x98
	s_load_dword s14, s[4:5], 0x54
	s_load_dwordx2 s[0:1], s[4:5], 0x8c
	s_abs_i32 s19, s29
	s_mul_hi_u32 s34, s19, s38
	s_waitcnt lgkmcnt(0)
	s_ashr_i32 s15, s26, 2
	s_ashr_i32 s26, s35, 1
	;; [unrolled: 1-line block ×4, first 2 shown]
	s_mul_i32 s25, s33, s25
	s_mul_hi_u32 s35, s33, s24
	s_add_i32 s25, s35, s25
	s_mul_i32 s35, s0, s24
	s_ashr_i32 s38, s29, 31
	s_ashr_i32 s37, s37, 31
	s_add_i32 s25, s25, s35
	s_mul_i32 s24, s33, s24
	s_add_u32 s10, s10, s24
	s_addc_u32 s11, s11, s25
	s_mul_i32 s25, s34, s36
	s_sub_i32 s19, s19, s25
	s_xor_b32 s24, s38, s37
	s_add_i32 s25, s34, 1
	s_sub_i32 s35, s19, s36
	s_cmp_ge_u32 s19, s36
	s_cselect_b32 s25, s25, s34
	s_cselect_b32 s19, s35, s19
	s_add_i32 s34, s25, 1
	s_cmp_ge_u32 s19, s36
	s_cselect_b32 s19, s34, s25
	s_load_dwordx2 s[8:9], s[4:5], 0xa8
	s_xor_b32 s19, s19, s24
	s_sub_i32 s19, s19, s24
	s_mul_i32 s1, s19, s1
	s_ashr_i32 s24, s1, 31
	s_add_u32 s1, s10, s1
	s_addc_u32 s10, s11, s24
	s_waitcnt lgkmcnt(0)
	s_mul_i32 s9, s33, s9
	s_mul_hi_u32 s11, s33, s8
	s_add_i32 s9, s11, s9
	s_mul_i32 s0, s0, s8
	s_add_i32 s9, s9, s0
	s_mul_i32 s0, s33, s8
	v_lshrrev_b32_e32 v2, 3, v0
	s_add_u32 s0, s12, s0
	s_mul_i32 s19, s19, s27
	v_lshl_add_u32 v2, v9, 2, v2
	s_addc_u32 s8, s13, s9
	s_ashr_i32 s9, s19, 31
	v_and_b32_e32 v3, 28, v10
	v_mul_u32_u24_e32 v4, 0x90, v2
	v_mul_lo_u32 v2, s18, v2
	s_add_u32 s11, s0, s19
	v_lshlrev_b32_e32 v5, 2, v3
	v_ashrrev_i32_e32 v3, 31, v2
	s_addc_u32 s8, s8, s9
	s_movk_i32 s9, 0x1800
	v_lshlrev_b64 v[2:3], 2, v[2:3]
	v_add3_u32 v16, v4, v5, s9
	v_mov_b32_e32 v4, s10
	v_add_co_u32_e32 v2, vcc, s1, v2
	v_addc_co_u32_e32 v3, vcc, v4, v3, vcc
	v_add_co_u32_e32 v17, vcc, v2, v5
	v_mov_b32_e32 v2, 0x2a00
	v_addc_co_u32_e32 v18, vcc, 0, v3, vcc
	v_lshl_add_u32 v21, v9, 7, v2
	v_lshrrev_b32_e32 v2, 4, v0
	v_and_b32_e32 v3, 60, v10
	v_add_u32_e32 v2, v8, v2
	v_lshlrev_b32_e32 v5, 2, v3
	v_lshl_or_b32 v3, v2, 8, v5
	v_mul_lo_u32 v2, s15, v2
	s_movk_i32 s0, 0x90
	v_mov_b32_e32 v4, 0x1800
	v_add_u32_e32 v23, 0x1800, v3
	v_ashrrev_i32_e32 v3, 31, v2
	v_mad_u32_u24 v19, v0, s0, v4
	v_mad_u64_u32 v[6:7], s[0:1], v6, s26, v[0:1]
	v_lshlrev_b64 v[2:3], 2, v[2:3]
	v_mov_b32_e32 v7, s8
	v_add_co_u32_e32 v2, vcc, s11, v2
	v_addc_co_u32_e32 v3, vcc, v7, v3, vcc
	v_lshl_add_u32 v22, v26, 1, v21
	v_add_co_u32_e32 v24, vcc, v2, v5
	v_lshl_add_u32 v26, v26, 2, v4
	s_add_u32 s0, s4, 0xd0
	v_mov_b32_e32 v2, 0xfeffffff
	v_mov_b32_e32 v4, 0
	v_mul_u32_u24_e32 v20, 0x300, v9
	v_addc_co_u32_e32 v25, vcc, 0, v3, vcc
	s_addc_u32 s1, s5, 0
	v_mov_b32_e32 v7, 0
	v_mov_b32_e32 v27, s31
	s_mov_b32 s10, 0x3f200000
	s_mov_b32 s11, 0x3fb8aa3b
	;; [unrolled: 1-line block ×4, first 2 shown]
	v_mov_b32_e32 v28, 0xbd5c1c4e
	v_mov_b32_e32 v29, 0x3e088382
	;; [unrolled: 1-line block ×3, first 2 shown]
	v_mbcnt_hi_u32_b32 v15, -1, v31
	s_brev_b32 s19, -2
	v_mov_b32_e32 v31, 0x7f800000
	v_mov_b32_e32 v12, 0
	;; [unrolled: 1-line block ×6, first 2 shown]
	s_branch .LBB20_14
.LBB20_13:                              ;   in Loop: Header=BB20_14 Depth=1
	s_or_b64 exec, exec, s[8:9]
	v_cvt_f32_f16_e32 v9, v9
	v_bfi_b32 v32, s19, v46, v32
	v_max_f32_e32 v46, v3, v3
	s_mul_hi_i32 s9, s6, s15
	v_fmac_f32_e32 v9, s14, v32
	v_add_f32_e32 v32, 0x40051340, v9
	v_max_f32_e32 v32, v46, v32
	ds_bpermute_b32 v45, v45, v32
	s_mul_i32 s8, s6, s15
	s_lshl_b64 s[8:9], s[8:9], 2
	v_add_co_u32_e32 v46, vcc, s8, v24
	s_waitcnt lgkmcnt(0)
	v_max_f32_e32 v45, v45, v45
	v_max_f32_e32 v32, v32, v45
	v_mov_b32_e32 v45, s9
	v_addc_co_u32_e32 v47, vcc, v25, v45, vcc
	s_barrier
	global_load_dwordx4 v[46:49], v[46:47], off
	ds_bpermute_b32 v39, v39, v32
	s_or_b32 s8, s6, 16
	s_mul_hi_i32 s9, s8, s15
	s_mul_i32 s8, s8, s15
	s_lshl_b64 s[8:9], s[8:9], 2
	s_waitcnt lgkmcnt(0)
	v_max_f32_e32 v39, v39, v39
	v_max_f32_e32 v32, v32, v39
	ds_bpermute_b32 v39, v40, v32
	v_mov_b32_e32 v40, v2
	v_mov_b32_e32 v89, s9
	s_waitcnt lgkmcnt(0)
	v_max_f32_e32 v39, v39, v39
	v_max_f32_e32 v32, v32, v39
	ds_bpermute_b32 v39, v41, v32
	v_mov_b32_e32 v41, v3
	v_max_f32_e32 v3, v42, v42
	s_waitcnt lgkmcnt(0)
	v_max_f32_e32 v2, v39, v39
	v_max_f32_e32 v32, v32, v2
	ds_bpermute_b32 v39, v43, v32
	v_max_f32_e32 v2, v44, v44
	v_max_f32_e32 v2, v3, v2
	s_waitcnt lgkmcnt(0)
	v_max_f32_e32 v3, v39, v39
	v_max_f32_e32 v3, v32, v3
	v_pk_add_f32 v[8:9], v[8:9], v[2:3] neg_lo:[0,1] neg_hi:[0,1]
	v_mul_f32_e32 v32, 0x3fb8aa3b, v9
	v_fma_f32 v42, v9, s11, -v32
	v_rndne_f32_e32 v43, v32
	v_mul_f32_e32 v39, 0x3fb8aa3b, v8
	v_fmac_f32_e32 v42, 0x32a5705f, v9
	v_sub_f32_e32 v32, v32, v43
	v_add_f32_e32 v32, v32, v42
	v_fma_f32 v42, v8, s11, -v39
	v_rndne_f32_e32 v44, v39
	v_cvt_i32_f32_e32 v43, v43
	v_exp_f32_e32 v32, v32
	v_fmac_f32_e32 v42, 0x32a5705f, v8
	v_sub_f32_e32 v39, v39, v44
	v_add_f32_e32 v39, v39, v42
	v_exp_f32_e32 v39, v39
	v_cvt_i32_f32_e32 v42, v44
	v_ldexp_f32 v32, v32, v43
	v_cmp_ngt_f32_e32 vcc, s12, v9
	v_pk_add_f32 v[92:93], v[40:41], v[2:3] neg_lo:[0,1] neg_hi:[0,1]
	v_cndmask_b32_e32 v32, 0, v32, vcc
	v_cmp_nlt_f32_e32 vcc, s13, v9
	v_mul_f32_e32 v40, 0x3fb8aa3b, v93
	v_cndmask_b32_e32 v9, v31, v32, vcc
	v_ldexp_f32 v32, v39, v42
	v_cmp_ngt_f32_e32 vcc, s12, v8
	v_fma_f32 v41, v93, s11, -v40
	v_rndne_f32_e32 v42, v40
	v_cndmask_b32_e32 v32, 0, v32, vcc
	v_cmp_nlt_f32_e32 vcc, s13, v8
	v_fmac_f32_e32 v41, 0x32a5705f, v93
	v_sub_f32_e32 v40, v40, v42
	v_cndmask_b32_e32 v8, v31, v32, vcc
	v_add_f32_e32 v40, v40, v41
	v_cvt_f16_f32_e32 v32, v9
	v_cvt_f16_f32_e32 v39, v8
	v_exp_f32_e32 v40, v40
	v_cvt_i32_f32_e32 v41, v42
	v_add_co_u32_e32 v88, vcc, s8, v24
	v_pack_b32_f16 v32, v39, v32
	v_ldexp_f32 v39, v40, v41
	v_mul_f32_e32 v40, 0x3fb8aa3b, v92
	v_fma_f32 v41, v92, s11, -v40
	v_rndne_f32_e32 v42, v40
	v_fmac_f32_e32 v41, 0x32a5705f, v92
	v_sub_f32_e32 v40, v40, v42
	v_add_f32_e32 v40, v40, v41
	ds_write_b32 v22, v32
	s_waitcnt vmcnt(0)
	ds_write_b128 v23, v[46:49]
	v_add_u32_e32 v32, 0x800, v26
	v_addc_co_u32_e32 v89, vcc, v25, v89, vcc
	v_exp_f32_e32 v94, v40
	v_cvt_i32_f32_e32 v95, v42
	s_waitcnt lgkmcnt(0)
	s_barrier
	ds_read2_b64 v[40:43], v26 offset1:32
	ds_read_b128 v[44:47], v21
	ds_read_b128 v[48:51], v21 offset:16
	ds_read_b128 v[52:55], v21 offset:32
	;; [unrolled: 1-line block ×3, first 2 shown]
	ds_read2_b64 v[60:63], v26 offset0:64 offset1:96
	ds_read2_b64 v[64:67], v26 offset0:128 offset1:160
	;; [unrolled: 1-line block ×3, first 2 shown]
	ds_read2_b64 v[72:75], v32 offset1:32
	ds_read2_b64 v[76:79], v32 offset0:64 offset1:96
	ds_read2_b64 v[80:83], v32 offset0:128 offset1:160
	ds_read2_b64 v[84:87], v32 offset0:192 offset1:224
	s_waitcnt lgkmcnt(0)
	s_barrier
	global_load_dwordx4 v[88:91], v[88:89], off
	v_cmp_ngt_f32_e32 vcc, s12, v93
	v_cndmask_b32_e32 v39, 0, v39, vcc
	v_cmp_nlt_f32_e32 vcc, s13, v93
	v_cndmask_b32_e32 v93, v31, v39, vcc
	v_ldexp_f32 v39, v94, v95
	v_cmp_ngt_f32_e32 vcc, s12, v92
	v_cndmask_b32_e32 v39, 0, v39, vcc
	v_cmp_nlt_f32_e32 vcc, s13, v92
	v_cvt_f16_f32_e32 v94, v93
	v_cndmask_b32_e32 v92, v31, v39, vcc
	v_cvt_f16_f32_e32 v39, v92
	v_pk_fma_f32 v[4:5], v[4:5], v[92:93], v[8:9]
	v_pk_mul_f16 v9, v40, v44 op_sel:[0,1]
	v_pk_mul_f16 v7, v94, v7 op_sel_hi:[0,1]
	v_pk_mul_f16 v8, v40, v44 op_sel_hi:[1,0]
	v_pk_fma_f16 v9, v12, v94, v9 op_sel_hi:[1,0,1]
	v_pk_mul_f16 v12, v41, v44 op_sel_hi:[1,0]
	v_pk_fma_f16 v8, v39, v14, v8 op_sel_hi:[0,1,1]
	v_pk_fma_f16 v12, v39, v13, v12 op_sel_hi:[0,1,1]
	v_pk_fma_f16 v7, v41, v44, v7 op_sel:[0,1,0]
	v_pk_fma_f16 v8, v42, v45, v8 op_sel_hi:[1,0,1]
	v_pk_fma_f16 v9, v42, v45, v9 op_sel:[0,1,0]
	;; [unrolled: 2-line block ×30, first 2 shown]
	v_pk_fma_f16 v12, v87, v59, v12 op_sel_hi:[1,0,1]
	s_waitcnt vmcnt(0)
	ds_write_b128 v23, v[88:91]
	s_waitcnt lgkmcnt(0)
	s_barrier
	ds_read2_b64 v[40:43], v26 offset1:32
	ds_read_b128 v[44:47], v21 offset:64
	v_pk_fma_f16 v7, v87, v59, v7 op_sel:[0,1,0]
	ds_read_b128 v[48:51], v21 offset:80
	ds_read_b128 v[52:55], v21 offset:96
	;; [unrolled: 1-line block ×3, first 2 shown]
	ds_read2_b64 v[60:63], v26 offset0:64 offset1:96
	s_waitcnt lgkmcnt(4)
	v_pk_fma_f16 v8, v40, v44, v8 op_sel_hi:[1,0,1]
	v_pk_fma_f16 v9, v40, v44, v9 op_sel:[0,1,0]
	v_pk_fma_f16 v12, v41, v44, v12 op_sel_hi:[1,0,1]
	v_pk_fma_f16 v7, v41, v44, v7 op_sel:[0,1,0]
	v_pk_fma_f16 v8, v42, v45, v8 op_sel_hi:[1,0,1]
	v_pk_fma_f16 v9, v42, v45, v9 op_sel:[0,1,0]
	v_pk_fma_f16 v12, v43, v45, v12 op_sel_hi:[1,0,1]
	v_pk_fma_f16 v7, v43, v45, v7 op_sel:[0,1,0]
	ds_read2_b64 v[40:43], v26 offset0:128 offset1:160
	s_waitcnt lgkmcnt(1)
	v_pk_fma_f16 v8, v60, v46, v8 op_sel_hi:[1,0,1]
	v_pk_fma_f16 v9, v60, v46, v9 op_sel:[0,1,0]
	v_pk_fma_f16 v12, v61, v46, v12 op_sel_hi:[1,0,1]
	v_pk_fma_f16 v7, v61, v46, v7 op_sel:[0,1,0]
	v_pk_fma_f16 v8, v62, v47, v8 op_sel_hi:[1,0,1]
	v_pk_fma_f16 v9, v62, v47, v9 op_sel:[0,1,0]
	v_pk_fma_f16 v12, v63, v47, v12 op_sel_hi:[1,0,1]
	v_pk_fma_f16 v7, v63, v47, v7 op_sel:[0,1,0]
	;; [unrolled: 10-line block ×3, first 2 shown]
	ds_read2_b64 v[40:43], v32 offset1:32
	s_waitcnt lgkmcnt(1)
	v_pk_fma_f16 v8, v44, v50, v8 op_sel_hi:[1,0,1]
	v_pk_fma_f16 v9, v44, v50, v9 op_sel:[0,1,0]
	v_pk_fma_f16 v12, v45, v50, v12 op_sel_hi:[1,0,1]
	v_pk_fma_f16 v7, v45, v50, v7 op_sel:[0,1,0]
	v_pk_fma_f16 v8, v46, v51, v8 op_sel_hi:[1,0,1]
	v_pk_fma_f16 v9, v46, v51, v9 op_sel:[0,1,0]
	v_pk_fma_f16 v12, v47, v51, v12 op_sel_hi:[1,0,1]
	v_pk_fma_f16 v7, v47, v51, v7 op_sel:[0,1,0]
	ds_read2_b64 v[44:47], v32 offset0:64 offset1:96
	s_waitcnt lgkmcnt(1)
	v_pk_fma_f16 v8, v40, v52, v8 op_sel_hi:[1,0,1]
	v_pk_fma_f16 v9, v40, v52, v9 op_sel:[0,1,0]
	v_pk_fma_f16 v12, v41, v52, v12 op_sel_hi:[1,0,1]
	v_pk_fma_f16 v7, v41, v52, v7 op_sel:[0,1,0]
	;; [unrolled: 2-line block ×4, first 2 shown]
	s_waitcnt lgkmcnt(0)
	v_pk_fma_f16 v8, v44, v54, v8 op_sel_hi:[1,0,1]
	v_pk_fma_f16 v9, v44, v54, v9 op_sel:[0,1,0]
	v_pk_fma_f16 v12, v45, v54, v12 op_sel_hi:[1,0,1]
	v_pk_fma_f16 v7, v45, v54, v7 op_sel:[0,1,0]
	ds_read2_b64 v[40:43], v32 offset0:128 offset1:160
	v_pk_fma_f16 v8, v46, v55, v8 op_sel_hi:[1,0,1]
	v_pk_fma_f16 v9, v46, v55, v9 op_sel:[0,1,0]
	v_pk_fma_f16 v12, v47, v55, v12 op_sel_hi:[1,0,1]
	v_pk_fma_f16 v7, v47, v55, v7 op_sel:[0,1,0]
	ds_read2_b64 v[44:47], v32 offset0:192 offset1:224
	s_waitcnt lgkmcnt(0)
	s_barrier
	s_load_dword s8, s[0:1], 0x4
	v_pk_fma_f16 v8, v40, v56, v8 op_sel_hi:[1,0,1]
	v_pk_fma_f16 v9, v40, v56, v9 op_sel:[0,1,0]
	v_pk_fma_f16 v12, v41, v56, v12 op_sel_hi:[1,0,1]
	v_pk_fma_f16 v7, v41, v56, v7 op_sel:[0,1,0]
	;; [unrolled: 2-line block ×4, first 2 shown]
	s_waitcnt lgkmcnt(0)
	s_lshl_b32 s8, s8, 5
	v_pk_fma_f16 v8, v44, v58, v8 op_sel_hi:[1,0,1]
	v_pk_fma_f16 v9, v44, v58, v9 op_sel:[0,1,0]
	v_pk_fma_f16 v13, v45, v58, v12 op_sel_hi:[1,0,1]
	v_pk_fma_f16 v7, v45, v58, v7 op_sel:[0,1,0]
	s_add_i32 s6, s8, s6
	v_pk_fma_f16 v14, v46, v59, v8 op_sel_hi:[1,0,1]
	v_pk_fma_f16 v12, v46, v59, v9 op_sel:[0,1,0]
	v_pk_fma_f16 v13, v47, v59, v13 op_sel_hi:[1,0,1]
	s_cmp_ge_i32 s6, s28
	v_pk_fma_f16 v7, v47, v59, v7 op_sel:[0,1,0]
	s_cbranch_scc1 .LBB20_22
.LBB20_14:                              ; =>This Inner Loop Header: Depth=1
	s_mul_hi_i32 s9, s6, s18
	s_mul_i32 s8, s6, s18
	s_lshl_b64 s[8:9], s[8:9], 2
	v_mov_b32_e32 v9, s9
	v_add_co_u32_e32 v8, vcc, s8, v17
	v_addc_co_u32_e32 v9, vcc, v18, v9, vcc
	global_load_dwordx4 v[32:35], v[8:9], off
	s_waitcnt vmcnt(0)
	ds_write_b128 v16, v[32:35]
	s_waitcnt lgkmcnt(0)
	s_barrier
	ds_read_b128 v[34:37], v19
	ds_read_b128 v[38:41], v20
	v_mov_b32_e32 v33, 0
	ds_read_b128 v[42:45], v20 offset:384
	s_waitcnt lgkmcnt(1)
	;;#ASMSTART
	v_dot2_f32_f16 v33, v34, v38, v33
	;;#ASMEND
	;;#ASMSTART
	v_dot2_f32_f16 v33, v35, v39, v33
	;;#ASMEND
	v_mov_b32_e32 v32, 0
	;;#ASMSTART
	v_dot2_f32_f16 v33, v36, v40, v33
	;;#ASMEND
	;;#ASMSTART
	v_dot2_f32_f16 v33, v37, v41, v33
	;;#ASMEND
	s_waitcnt lgkmcnt(0)
	;;#ASMSTART
	v_dot2_f32_f16 v32, v34, v42, v32
	;;#ASMEND
	;;#ASMSTART
	v_dot2_f32_f16 v32, v35, v43, v32
	;;#ASMEND
	;;#ASMSTART
	v_dot2_f32_f16 v32, v36, v44, v32
	;;#ASMEND
	;;#ASMSTART
	v_dot2_f32_f16 v32, v37, v45, v32
	;;#ASMEND
	ds_read_b128 v[34:37], v19 offset:16
	ds_read_b128 v[38:41], v20 offset:16
	ds_read_b128 v[42:45], v20 offset:400
	s_waitcnt lgkmcnt(1)
	;;#ASMSTART
	v_dot2_f32_f16 v33, v34, v38, v33
	;;#ASMEND
	;;#ASMSTART
	v_dot2_f32_f16 v33, v35, v39, v33
	;;#ASMEND
	;;#ASMSTART
	v_dot2_f32_f16 v33, v36, v40, v33
	;;#ASMEND
	;;#ASMSTART
	v_dot2_f32_f16 v33, v37, v41, v33
	;;#ASMEND
	s_waitcnt lgkmcnt(0)
	;;#ASMSTART
	v_dot2_f32_f16 v32, v34, v42, v32
	;;#ASMEND
	;;#ASMSTART
	v_dot2_f32_f16 v32, v35, v43, v32
	;;#ASMEND
	;;#ASMSTART
	v_dot2_f32_f16 v32, v36, v44, v32
	;;#ASMEND
	;;#ASMSTART
	v_dot2_f32_f16 v32, v37, v45, v32
	;;#ASMEND
	ds_read_b128 v[34:37], v19 offset:32
	ds_read_b128 v[38:41], v20 offset:32
	ds_read_b128 v[42:45], v20 offset:416
	s_waitcnt lgkmcnt(1)
	;;#ASMSTART
	v_dot2_f32_f16 v33, v34, v38, v33
	;;#ASMEND
	;;#ASMSTART
	v_dot2_f32_f16 v33, v35, v39, v33
	;;#ASMEND
	;; [unrolled: 29-line block ×7, first 2 shown]
	;;#ASMSTART
	v_dot2_f32_f16 v33, v36, v40, v33
	;;#ASMEND
	;;#ASMSTART
	v_dot2_f32_f16 v33, v37, v41, v33
	;;#ASMEND
	s_waitcnt lgkmcnt(0)
	;;#ASMSTART
	v_dot2_f32_f16 v32, v34, v42, v32
	;;#ASMEND
	;;#ASMSTART
	v_dot2_f32_f16 v32, v35, v43, v32
	;;#ASMEND
	;; [unrolled: 3-line block ×4, first 2 shown]
	s_barrier
	global_load_dwordx4 v[34:37], v[8:9], off offset:128
	s_waitcnt vmcnt(0)
	ds_write_b128 v16, v[34:37]
	s_waitcnt lgkmcnt(0)
	s_barrier
	ds_read_b128 v[34:37], v19
	ds_read_b128 v[38:41], v20 offset:128
	ds_read_b128 v[42:45], v20 offset:512
	s_waitcnt lgkmcnt(1)
	;;#ASMSTART
	v_dot2_f32_f16 v33, v34, v38, v33
	;;#ASMEND
	;;#ASMSTART
	v_dot2_f32_f16 v33, v35, v39, v33
	;;#ASMEND
	;;#ASMSTART
	v_dot2_f32_f16 v33, v36, v40, v33
	;;#ASMEND
	;;#ASMSTART
	v_dot2_f32_f16 v33, v37, v41, v33
	;;#ASMEND
	s_waitcnt lgkmcnt(0)
	;;#ASMSTART
	v_dot2_f32_f16 v32, v34, v42, v32
	;;#ASMEND
	;;#ASMSTART
	v_dot2_f32_f16 v32, v35, v43, v32
	;;#ASMEND
	;;#ASMSTART
	v_dot2_f32_f16 v32, v36, v44, v32
	;;#ASMEND
	;;#ASMSTART
	v_dot2_f32_f16 v32, v37, v45, v32
	;;#ASMEND
	ds_read_b128 v[34:37], v19 offset:16
	ds_read_b128 v[38:41], v20 offset:144
	ds_read_b128 v[42:45], v20 offset:528
	s_waitcnt lgkmcnt(1)
	;;#ASMSTART
	v_dot2_f32_f16 v33, v34, v38, v33
	;;#ASMEND
	;;#ASMSTART
	v_dot2_f32_f16 v33, v35, v39, v33
	;;#ASMEND
	;;#ASMSTART
	v_dot2_f32_f16 v33, v36, v40, v33
	;;#ASMEND
	;;#ASMSTART
	v_dot2_f32_f16 v33, v37, v41, v33
	;;#ASMEND
	s_waitcnt lgkmcnt(0)
	;;#ASMSTART
	v_dot2_f32_f16 v32, v34, v42, v32
	;;#ASMEND
	;;#ASMSTART
	v_dot2_f32_f16 v32, v35, v43, v32
	;;#ASMEND
	;;#ASMSTART
	v_dot2_f32_f16 v32, v36, v44, v32
	;;#ASMEND
	;;#ASMSTART
	v_dot2_f32_f16 v32, v37, v45, v32
	;;#ASMEND
	ds_read_b128 v[34:37], v19 offset:32
	;; [unrolled: 29-line block ×7, first 2 shown]
	ds_read_b128 v[38:41], v20 offset:240
	ds_read_b128 v[42:45], v20 offset:624
	s_waitcnt lgkmcnt(1)
	;;#ASMSTART
	v_dot2_f32_f16 v33, v34, v38, v33
	;;#ASMEND
	;;#ASMSTART
	v_dot2_f32_f16 v33, v35, v39, v33
	;;#ASMEND
	;; [unrolled: 3-line block ×4, first 2 shown]
	s_waitcnt lgkmcnt(0)
	;;#ASMSTART
	v_dot2_f32_f16 v32, v34, v42, v32
	;;#ASMEND
	;;#ASMSTART
	v_dot2_f32_f16 v32, v35, v43, v32
	;;#ASMEND
	;; [unrolled: 3-line block ×4, first 2 shown]
	s_barrier
	global_load_dwordx4 v[34:37], v[8:9], off offset:256
	v_add_u32_e32 v8, s6, v6
	v_ashrrev_i32_e32 v9, 31, v8
	v_lshlrev_b64 v[8:9], 1, v[8:9]
	v_add_co_u32_e32 v8, vcc, s30, v8
	v_addc_co_u32_e32 v9, vcc, v27, v9, vcc
	s_waitcnt vmcnt(0)
	ds_write_b128 v16, v[34:37]
	s_waitcnt lgkmcnt(0)
	s_barrier
	ds_read_b128 v[34:37], v19
	ds_read_b128 v[38:41], v20 offset:256
	ds_read_b128 v[42:45], v20 offset:640
	s_waitcnt lgkmcnt(1)
	;;#ASMSTART
	v_dot2_f32_f16 v33, v34, v38, v33
	;;#ASMEND
	;;#ASMSTART
	v_dot2_f32_f16 v33, v35, v39, v33
	;;#ASMEND
	;;#ASMSTART
	v_dot2_f32_f16 v33, v36, v40, v33
	;;#ASMEND
	;;#ASMSTART
	v_dot2_f32_f16 v33, v37, v41, v33
	;;#ASMEND
	s_waitcnt lgkmcnt(0)
	;;#ASMSTART
	v_dot2_f32_f16 v32, v34, v42, v32
	;;#ASMEND
	;;#ASMSTART
	v_dot2_f32_f16 v32, v35, v43, v32
	;;#ASMEND
	;;#ASMSTART
	v_dot2_f32_f16 v32, v36, v44, v32
	;;#ASMEND
	;;#ASMSTART
	v_dot2_f32_f16 v32, v37, v45, v32
	;;#ASMEND
	ds_read_b128 v[34:37], v19 offset:16
	ds_read_b128 v[38:41], v20 offset:272
	ds_read_b128 v[42:45], v20 offset:656
	s_waitcnt lgkmcnt(1)
	;;#ASMSTART
	v_dot2_f32_f16 v33, v34, v38, v33
	;;#ASMEND
	;;#ASMSTART
	v_dot2_f32_f16 v33, v35, v39, v33
	;;#ASMEND
	;;#ASMSTART
	v_dot2_f32_f16 v33, v36, v40, v33
	;;#ASMEND
	;;#ASMSTART
	v_dot2_f32_f16 v33, v37, v41, v33
	;;#ASMEND
	s_waitcnt lgkmcnt(0)
	;;#ASMSTART
	v_dot2_f32_f16 v32, v34, v42, v32
	;;#ASMEND
	;;#ASMSTART
	v_dot2_f32_f16 v32, v35, v43, v32
	;;#ASMEND
	;;#ASMSTART
	v_dot2_f32_f16 v32, v36, v44, v32
	;;#ASMEND
	;;#ASMSTART
	v_dot2_f32_f16 v32, v37, v45, v32
	;;#ASMEND
	ds_read_b128 v[34:37], v19 offset:32
	;; [unrolled: 29-line block ×7, first 2 shown]
	ds_read_b128 v[38:41], v20 offset:368
	ds_read_b128 v[42:45], v20 offset:752
	s_waitcnt lgkmcnt(1)
	;;#ASMSTART
	v_dot2_f32_f16 v33, v34, v38, v33
	;;#ASMEND
	;;#ASMSTART
	v_dot2_f32_f16 v33, v35, v39, v33
	;;#ASMEND
	;; [unrolled: 3-line block ×4, first 2 shown]
	s_waitcnt lgkmcnt(0)
	;;#ASMSTART
	v_dot2_f32_f16 v32, v34, v42, v32
	;;#ASMEND
	;;#ASMSTART
	v_dot2_f32_f16 v32, v35, v43, v32
	;;#ASMEND
	;; [unrolled: 3-line block ×4, first 2 shown]
	flat_load_ushort v9, v[8:9]
	v_cmp_nlt_f32_e64 s[8:9], |v33|, s10
                                        ; implicit-def: $vgpr8
	s_and_saveexec_b64 s[24:25], s[8:9]
	s_xor_b64 s[8:9], exec, s[24:25]
	s_cbranch_execz .LBB20_16
; %bb.15:                               ;   in Loop: Header=BB20_14 Depth=1
	v_add_f32_e64 v8, |v33|, |v33|
	v_mul_f32_e32 v34, 0x3fb8aa3b, v8
	v_rndne_f32_e32 v35, v34
	v_sub_f32_e32 v36, v34, v35
	v_fma_f32 v34, v8, s11, -v34
	v_fmac_f32_e32 v34, 0x32a5705f, v8
	v_add_f32_e32 v34, v36, v34
	v_cvt_i32_f32_e32 v35, v35
	v_exp_f32_e32 v34, v34
	v_cmp_ngt_f32_e32 vcc, s12, v8
	v_ldexp_f32 v34, v34, v35
	v_cndmask_b32_e32 v34, 0, v34, vcc
	v_cmp_nlt_f32_e32 vcc, s13, v8
	v_cndmask_b32_e32 v8, v31, v34, vcc
	v_add_f32_e32 v8, 1.0, v8
	v_rcp_f32_e32 v8, v8
	v_fma_f32 v8, v8, -2.0, 1.0
.LBB20_16:                              ;   in Loop: Header=BB20_14 Depth=1
	s_andn2_saveexec_b64 s[8:9], s[8:9]
; %bb.17:                               ;   in Loop: Header=BB20_14 Depth=1
	v_mul_f32_e32 v8, v33, v33
	v_mov_b32_e32 v34, 0x3ca908c9
	v_fmac_f32_e32 v34, 0xbbbac73d, v8
	v_fma_f32 v34, v8, v34, v28
	v_fma_f32 v34, v8, v34, v29
	;; [unrolled: 1-line block ×3, first 2 shown]
	v_mul_f32_e64 v34, |v33|, v34
	v_fma_f32 v8, v8, v34, |v33|
; %bb.18:                               ;   in Loop: Header=BB20_14 Depth=1
	s_or_b64 exec, exec, s[8:9]
	v_and_b32_e32 v34, 0x60, v15
	v_add_u32_e32 v34, 32, v34
	v_xor_b32_e32 v35, 16, v15
	v_cmp_lt_i32_e32 vcc, v35, v34
	v_bfi_b32 v8, s19, v8, v33
	v_cndmask_b32_e32 v36, v15, v35, vcc
	s_waitcnt vmcnt(0) lgkmcnt(0)
	v_fma_mix_f32 v8, v8, s14, v9 op_sel_hi:[0,0,1]
	v_lshlrev_b32_e32 v45, 2, v36
	v_add_f32_e32 v33, 0x40051340, v8
	v_max_f32_e32 v36, v2, v2
	v_max_f32_e32 v36, v36, v33
	ds_bpermute_b32 v37, v45, v36
	v_xor_b32_e32 v33, 8, v15
	v_cmp_lt_i32_e32 vcc, v33, v34
	v_cndmask_b32_e32 v38, v15, v33, vcc
	v_lshlrev_b32_e32 v39, 2, v38
	s_waitcnt lgkmcnt(0)
	v_max_f32_e32 v37, v37, v37
	v_max_f32_e32 v37, v36, v37
	ds_bpermute_b32 v38, v39, v37
	v_xor_b32_e32 v36, 4, v15
	v_cmp_lt_i32_e32 vcc, v36, v34
	v_cndmask_b32_e32 v40, v15, v36, vcc
	v_lshlrev_b32_e32 v40, 2, v40
	s_waitcnt lgkmcnt(0)
	;; [unrolled: 8-line block ×4, first 2 shown]
	v_max_f32_e32 v44, v44, v44
	v_max_f32_e32 v42, v42, v44
	ds_bpermute_b32 v44, v43, v42
	v_cmp_nlt_f32_e64 s[8:9], |v32|, s10
                                        ; implicit-def: $vgpr46
	s_and_saveexec_b64 s[24:25], s[8:9]
	s_xor_b64 s[8:9], exec, s[24:25]
	s_cbranch_execz .LBB20_20
; %bb.19:                               ;   in Loop: Header=BB20_14 Depth=1
	v_add_f32_e64 v46, |v32|, |v32|
	v_mul_f32_e32 v47, 0x3fb8aa3b, v46
	v_rndne_f32_e32 v48, v47
	v_sub_f32_e32 v49, v47, v48
	v_fma_f32 v47, v46, s11, -v47
	v_fmac_f32_e32 v47, 0x32a5705f, v46
	v_add_f32_e32 v47, v49, v47
	v_cvt_i32_f32_e32 v48, v48
	v_exp_f32_e32 v47, v47
	v_cmp_ngt_f32_e32 vcc, s12, v46
	v_ldexp_f32 v47, v47, v48
	v_cndmask_b32_e32 v47, 0, v47, vcc
	v_cmp_nlt_f32_e32 vcc, s13, v46
	v_cndmask_b32_e32 v46, v31, v47, vcc
	v_add_f32_e32 v46, 1.0, v46
	v_rcp_f32_e32 v46, v46
	v_fma_f32 v46, v46, -2.0, 1.0
.LBB20_20:                              ;   in Loop: Header=BB20_14 Depth=1
	s_andn2_saveexec_b64 s[8:9], s[8:9]
	s_cbranch_execz .LBB20_13
; %bb.21:                               ;   in Loop: Header=BB20_14 Depth=1
	v_mul_f32_e32 v46, v32, v32
	v_mov_b32_e32 v47, 0x3ca908c9
	v_fmac_f32_e32 v47, 0xbbbac73d, v46
	v_fma_f32 v47, v46, v47, v28
	v_fma_f32 v47, v46, v47, v29
	;; [unrolled: 1-line block ×3, first 2 shown]
	v_mul_f32_e64 v47, |v32|, v47
	v_fma_f32 v46, v46, v47, |v32|
	s_branch .LBB20_13
.LBB20_22:
	v_cmp_lt_i32_e32 vcc, v35, v34
	v_cndmask_b32_e32 v6, v15, v35, vcc
	v_lshlrev_b32_e32 v6, 2, v6
	ds_bpermute_b32 v8, v6, v4
	ds_bpermute_b32 v9, v6, v5
	v_cmp_lt_i32_e32 vcc, v33, v34
	v_cndmask_b32_e32 v6, v15, v33, vcc
	v_lshlrev_b32_e32 v6, 2, v6
	v_cmp_lt_i32_e32 vcc, v36, v34
	s_waitcnt lgkmcnt(0)
	v_pk_add_f32 v[4:5], v[4:5], v[8:9]
	ds_bpermute_b32 v8, v6, v4
	ds_bpermute_b32 v9, v6, v5
	v_cndmask_b32_e32 v6, v15, v36, vcc
	v_lshlrev_b32_e32 v6, 2, v6
	v_cmp_lt_i32_e32 vcc, v37, v34
	s_cmp_lg_u64 s[16:17], 0
	s_waitcnt lgkmcnt(0)
	v_pk_add_f32 v[4:5], v[4:5], v[8:9]
	ds_bpermute_b32 v8, v6, v4
	ds_bpermute_b32 v9, v6, v5
	v_cndmask_b32_e32 v6, v15, v37, vcc
	v_lshlrev_b32_e32 v6, 2, v6
	v_cmp_lt_i32_e32 vcc, v38, v34
	s_cselect_b64 s[8:9], -1, 0
	s_waitcnt lgkmcnt(0)
	v_pk_add_f32 v[4:5], v[4:5], v[8:9]
	ds_bpermute_b32 v8, v6, v4
	ds_bpermute_b32 v9, v6, v5
	v_cndmask_b32_e32 v6, v15, v38, vcc
	v_lshlrev_b32_e32 v6, 2, v6
	s_cmp_eq_u32 s7, 0
	s_cselect_b64 s[10:11], -1, 0
	s_waitcnt lgkmcnt(0)
	v_pk_add_f32 v[4:5], v[4:5], v[8:9]
	ds_bpermute_b32 v8, v6, v4
	ds_bpermute_b32 v9, v6, v5
	s_and_b64 s[8:9], s[10:11], s[8:9]
	s_mov_b64 s[0:1], 0
	s_and_b64 vcc, exec, s[8:9]
	s_waitcnt lgkmcnt(0)
	v_pk_add_f32 v[4:5], v[4:5], v[8:9]
	v_add_u32_e32 v8, s29, v11
	s_cbranch_vccnz .LBB20_24
; %bb.23:
	v_add_u32_e32 v6, s29, v11
	s_andn2_b64 vcc, exec, s[0:1]
	s_cbranch_vccz .LBB20_25
	s_branch .LBB20_26
.LBB20_24:
                                        ; implicit-def: $vgpr6
.LBB20_25:
	v_ashrrev_i32_e32 v9, 31, v8
	v_lshlrev_b64 v[16:17], 2, v[8:9]
	v_mov_b32_e32 v6, s17
	v_add_co_u32_e32 v16, vcc, s16, v16
	v_addc_co_u32_e32 v17, vcc, v6, v17, vcc
	global_load_dwordx2 v[16:17], v[16:17], off
	v_max_f32_e32 v9, v3, v3
	v_max_f32_e32 v11, v2, v2
	v_mov_b32_e32 v6, v8
	s_mov_b32 s0, 0x3fb8aa3b
	s_mov_b32 s1, 0xc2ce8ed0
	s_mov_b32 s6, 0x42b17218
	v_mov_b32_e32 v15, 0x7f800000
	s_waitcnt vmcnt(0)
	v_max_f32_e32 v8, v17, v17
	v_max_f32_e32 v18, v16, v16
	;; [unrolled: 1-line block ×4, first 2 shown]
	v_pk_add_f32 v[2:3], v[2:3], v[8:9] neg_lo:[0,1] neg_hi:[0,1]
	v_mul_f32_e32 v11, 0x3fb8aa3b, v3
	v_pk_add_f32 v[16:17], v[16:17], v[8:9] neg_lo:[0,1] neg_hi:[0,1]
	v_mul_f32_e32 v18, 0x3fb8aa3b, v2
	v_fma_f32 v21, v3, s0, -v11
	v_rndne_f32_e32 v22, v11
	v_mul_f32_e32 v19, 0x3fb8aa3b, v17
	v_fma_f32 v23, v2, s0, -v18
	v_rndne_f32_e32 v24, v18
	v_fmac_f32_e32 v21, 0x32a5705f, v3
	v_sub_f32_e32 v11, v11, v22
	v_mul_f32_e32 v20, 0x3fb8aa3b, v16
	v_fma_f32 v25, v17, s0, -v19
	v_rndne_f32_e32 v26, v19
	v_fmac_f32_e32 v23, 0x32a5705f, v2
	v_sub_f32_e32 v18, v18, v24
	v_add_f32_e32 v11, v11, v21
	v_fma_f32 v27, v16, s0, -v20
	v_rndne_f32_e32 v28, v20
	v_cvt_i32_f32_e32 v22, v22
	v_fmac_f32_e32 v25, 0x32a5705f, v17
	v_sub_f32_e32 v19, v19, v26
	v_add_f32_e32 v18, v18, v23
	v_exp_f32_e32 v11, v11
	v_cvt_i32_f32_e32 v24, v24
	v_fmac_f32_e32 v27, 0x32a5705f, v16
	v_sub_f32_e32 v20, v20, v28
	v_add_f32_e32 v19, v19, v25
	v_exp_f32_e32 v18, v18
	v_cvt_i32_f32_e32 v26, v26
	v_add_f32_e32 v20, v20, v27
	v_exp_f32_e32 v19, v19
	v_cvt_i32_f32_e32 v28, v28
	v_exp_f32_e32 v20, v20
	v_ldexp_f32 v11, v11, v22
	v_cmp_ngt_f32_e32 vcc, s1, v3
	v_ldexp_f32 v18, v18, v24
	v_cndmask_b32_e32 v11, 0, v11, vcc
	v_cmp_ngt_f32_e32 vcc, s1, v2
	v_ldexp_f32 v19, v19, v26
	v_cndmask_b32_e32 v18, 0, v18, vcc
	;; [unrolled: 3-line block ×3, first 2 shown]
	v_cmp_ngt_f32_e32 vcc, s1, v16
	v_cndmask_b32_e32 v20, 0, v20, vcc
	v_cmp_nlt_f32_e32 vcc, s6, v3
	v_cndmask_b32_e32 v3, v15, v11, vcc
	v_cmp_nlt_f32_e32 vcc, s6, v2
	;; [unrolled: 2-line block ×4, first 2 shown]
	v_cvt_f16_f32_e32 v11, v2
	v_cndmask_b32_e32 v16, v15, v20, vcc
	v_cvt_f16_f32_e32 v15, v3
	v_pk_fma_f32 v[4:5], v[4:5], v[2:3], v[16:17]
	v_pk_mul_f16 v14, v11, v14 op_sel_hi:[0,1]
	v_pk_mul_f16 v13, v11, v13 op_sel_hi:[0,1]
	;; [unrolled: 1-line block ×4, first 2 shown]
	v_pk_mov_b32 v[2:3], v[8:9], v[8:9] op_sel:[0,1]
.LBB20_26:
	s_load_dword s6, s[4:5], 0xd4
	v_mov_b32_e32 v8, 1.0
	s_waitcnt lgkmcnt(0)
	s_cmp_lg_u32 s6, 1
	s_cselect_b64 s[0:1], -1, 0
	s_cmp_eq_u32 s6, 1
	s_cselect_b64 s[4:5], -1, 0
	s_and_b64 vcc, exec, s[0:1]
	s_cbranch_vccnz .LBB20_28
; %bb.27:
	v_div_scale_f32 v8, s[8:9], v4, v4, 1.0
	v_rcp_f32_e32 v9, v8
	v_div_scale_f32 v11, vcc, 1.0, v4, 1.0
	v_fma_f32 v15, -v8, v9, 1.0
	v_fmac_f32_e32 v9, v15, v9
	v_mul_f32_e32 v15, v11, v9
	v_fma_f32 v16, -v8, v15, v11
	v_fmac_f32_e32 v15, v16, v9
	v_fma_f32 v8, -v8, v15, v11
	v_div_fmas_f32 v8, v8, v9, v15
	v_div_fixup_f32 v8, v8, v4, 1.0
.LBB20_28:
	s_mul_i32 s33, s33, s2
	v_add_u32_e32 v1, s33, v1
	v_mad_u64_u32 v[16:17], s[2:3], v1, s3, v[6:7]
	v_cmp_eq_u32_e32 vcc, 0, v0
	v_mul_lo_u32 v0, s6, v16
	v_add_u32_e32 v0, s7, v0
	v_cvt_f32_f16_sdwa v15, v14 dst_sel:DWORD dst_unused:UNUSED_PAD src0_sel:WORD_1
	v_cvt_f32_f16_e32 v14, v14
	v_cvt_f32_f16_sdwa v19, v13 dst_sel:DWORD dst_unused:UNUSED_PAD src0_sel:WORD_1
	v_cvt_f32_f16_e32 v18, v13
	v_lshl_add_u32 v16, v0, 7, v10
	v_mov_b32_e32 v17, 0
	v_lshlrev_b64 v[16:17], 2, v[16:17]
	s_and_b64 s[0:1], vcc, s[0:1]
	v_mov_b32_e32 v1, s21
	v_add_co_u32_e32 v20, vcc, s20, v16
	v_addc_co_u32_e32 v21, vcc, v1, v17, vcc
	v_pk_mul_f32 v[14:15], v[8:9], v[14:15] op_sel_hi:[0,1]
	v_pk_mul_f32 v[16:17], v[8:9], v[18:19] op_sel_hi:[0,1]
	global_store_dwordx4 v[20:21], v[14:17], off
	s_and_saveexec_b64 s[2:3], s[0:1]
	s_cbranch_execz .LBB20_30
; %bb.29:
	v_ashrrev_i32_e32 v1, 31, v0
	v_lshlrev_b64 v[8:9], 3, v[0:1]
	v_mov_b32_e32 v1, s23
	v_add_co_u32_e32 v8, vcc, s22, v8
	v_addc_co_u32_e32 v9, vcc, v1, v9, vcc
	v_mov_b32_e32 v14, v2
	v_mov_b32_e32 v15, v4
	global_store_dwordx2 v[8:9], v[14:15], off
.LBB20_30:
	s_or_b64 exec, exec, s[2:3]
	s_andn2_b64 vcc, exec, s[4:5]
	v_mov_b32_e32 v2, 1.0
	s_cbranch_vccnz .LBB20_32
; %bb.31:
	v_div_scale_f32 v1, s[2:3], v5, v5, 1.0
	v_rcp_f32_e32 v2, v1
	v_div_scale_f32 v4, vcc, 1.0, v5, 1.0
	v_fma_f32 v6, -v1, v2, 1.0
	v_fmac_f32_e32 v2, v6, v2
	v_mul_f32_e32 v6, v4, v2
	v_fma_f32 v8, -v1, v6, v4
	v_fmac_f32_e32 v6, v8, v2
	v_fma_f32 v1, -v1, v6, v4
	v_div_fmas_f32 v1, v1, v2, v6
	v_div_fixup_f32 v2, v1, v5, 1.0
.LBB20_32:
	v_add_u32_e32 v0, s6, v0
	v_lshl_add_u32 v8, v0, 7, v10
	v_cvt_f32_f16_sdwa v11, v12 dst_sel:DWORD dst_unused:UNUSED_PAD src0_sel:WORD_1
	v_cvt_f32_f16_e32 v10, v12
	v_cvt_f32_f16_sdwa v13, v7 dst_sel:DWORD dst_unused:UNUSED_PAD src0_sel:WORD_1
	v_cvt_f32_f16_e32 v12, v7
	v_mov_b32_e32 v9, 0
	v_lshlrev_b64 v[8:9], 2, v[8:9]
	v_mov_b32_e32 v1, s21
	v_add_co_u32_e32 v14, vcc, s20, v8
	v_addc_co_u32_e32 v15, vcc, v1, v9, vcc
	v_pk_mul_f32 v[6:7], v[2:3], v[10:11] op_sel_hi:[0,1]
	v_pk_mul_f32 v[8:9], v[2:3], v[12:13] op_sel_hi:[0,1]
	global_store_dwordx4 v[14:15], v[6:9], off
	s_and_saveexec_b64 s[2:3], s[0:1]
	s_cbranch_execz .LBB20_34
; %bb.33:
	v_ashrrev_i32_e32 v1, 31, v0
	v_lshlrev_b64 v[0:1], 3, v[0:1]
	v_mov_b32_e32 v2, s23
	v_add_co_u32_e32 v0, vcc, s22, v0
	v_addc_co_u32_e32 v1, vcc, v2, v1, vcc
	v_mov_b32_e32 v4, v3
	global_store_dwordx2 v[0:1], v[4:5], off
.LBB20_34:
	s_endpgm
	.section	.rodata,"a",@progbits
	.p2align	6, 0x0
	.amdhsa_kernel _ZL15flash_attn_tileILi192ELi128ELi1ELi16ELb1EEvPKcS1_S1_S1_S1_PKiPfP15HIP_vector_typeIfLj2EEffffjfiS5_IjLj3EEiiiiiiiiiiiliiliiiiil
		.amdhsa_group_segment_fixed_size 11776
		.amdhsa_private_segment_fixed_size 0
		.amdhsa_kernarg_size 464
		.amdhsa_user_sgpr_count 6
		.amdhsa_user_sgpr_private_segment_buffer 1
		.amdhsa_user_sgpr_dispatch_ptr 0
		.amdhsa_user_sgpr_queue_ptr 0
		.amdhsa_user_sgpr_kernarg_segment_ptr 1
		.amdhsa_user_sgpr_dispatch_id 0
		.amdhsa_user_sgpr_flat_scratch_init 0
		.amdhsa_user_sgpr_kernarg_preload_length 0
		.amdhsa_user_sgpr_kernarg_preload_offset 0
		.amdhsa_user_sgpr_private_segment_size 0
		.amdhsa_uses_dynamic_stack 0
		.amdhsa_system_sgpr_private_segment_wavefront_offset 0
		.amdhsa_system_sgpr_workgroup_id_x 1
		.amdhsa_system_sgpr_workgroup_id_y 1
		.amdhsa_system_sgpr_workgroup_id_z 1
		.amdhsa_system_sgpr_workgroup_info 0
		.amdhsa_system_vgpr_workitem_id 1
		.amdhsa_next_free_vgpr 96
		.amdhsa_next_free_sgpr 39
		.amdhsa_accum_offset 96
		.amdhsa_reserve_vcc 1
		.amdhsa_reserve_flat_scratch 0
		.amdhsa_float_round_mode_32 0
		.amdhsa_float_round_mode_16_64 0
		.amdhsa_float_denorm_mode_32 3
		.amdhsa_float_denorm_mode_16_64 3
		.amdhsa_dx10_clamp 1
		.amdhsa_ieee_mode 1
		.amdhsa_fp16_overflow 0
		.amdhsa_tg_split 0
		.amdhsa_exception_fp_ieee_invalid_op 0
		.amdhsa_exception_fp_denorm_src 0
		.amdhsa_exception_fp_ieee_div_zero 0
		.amdhsa_exception_fp_ieee_overflow 0
		.amdhsa_exception_fp_ieee_underflow 0
		.amdhsa_exception_fp_ieee_inexact 0
		.amdhsa_exception_int_div_zero 0
	.end_amdhsa_kernel
	.section	.text._ZL15flash_attn_tileILi192ELi128ELi1ELi16ELb1EEvPKcS1_S1_S1_S1_PKiPfP15HIP_vector_typeIfLj2EEffffjfiS5_IjLj3EEiiiiiiiiiiiliiliiiiil,"axG",@progbits,_ZL15flash_attn_tileILi192ELi128ELi1ELi16ELb1EEvPKcS1_S1_S1_S1_PKiPfP15HIP_vector_typeIfLj2EEffffjfiS5_IjLj3EEiiiiiiiiiiiliiliiiiil,comdat
.Lfunc_end20:
	.size	_ZL15flash_attn_tileILi192ELi128ELi1ELi16ELb1EEvPKcS1_S1_S1_S1_PKiPfP15HIP_vector_typeIfLj2EEffffjfiS5_IjLj3EEiiiiiiiiiiiliiliiiiil, .Lfunc_end20-_ZL15flash_attn_tileILi192ELi128ELi1ELi16ELb1EEvPKcS1_S1_S1_S1_PKiPfP15HIP_vector_typeIfLj2EEffffjfiS5_IjLj3EEiiiiiiiiiiiliiliiiiil
                                        ; -- End function
	.section	.AMDGPU.csdata,"",@progbits
; Kernel info:
; codeLenInByte = 8032
; NumSgprs: 43
; NumVgprs: 96
; NumAgprs: 0
; TotalNumVgprs: 96
; ScratchSize: 0
; MemoryBound: 0
; FloatMode: 240
; IeeeMode: 1
; LDSByteSize: 11776 bytes/workgroup (compile time only)
; SGPRBlocks: 5
; VGPRBlocks: 11
; NumSGPRsForWavesPerEU: 43
; NumVGPRsForWavesPerEU: 96
; AccumOffset: 96
; Occupancy: 5
; WaveLimiterHint : 1
; COMPUTE_PGM_RSRC2:SCRATCH_EN: 0
; COMPUTE_PGM_RSRC2:USER_SGPR: 6
; COMPUTE_PGM_RSRC2:TRAP_HANDLER: 0
; COMPUTE_PGM_RSRC2:TGID_X_EN: 1
; COMPUTE_PGM_RSRC2:TGID_Y_EN: 1
; COMPUTE_PGM_RSRC2:TGID_Z_EN: 1
; COMPUTE_PGM_RSRC2:TIDIG_COMP_CNT: 1
; COMPUTE_PGM_RSRC3_GFX90A:ACCUM_OFFSET: 23
; COMPUTE_PGM_RSRC3_GFX90A:TG_SPLIT: 0
	.section	.text._ZL15flash_attn_tileILi192ELi128ELi4ELi8ELb1EEvPKcS1_S1_S1_S1_PKiPfP15HIP_vector_typeIfLj2EEffffjfiS5_IjLj3EEiiiiiiiiiiiliiliiiiil,"axG",@progbits,_ZL15flash_attn_tileILi192ELi128ELi4ELi8ELb1EEvPKcS1_S1_S1_S1_PKiPfP15HIP_vector_typeIfLj2EEffffjfiS5_IjLj3EEiiiiiiiiiiiliiliiiiil,comdat
	.globl	_ZL15flash_attn_tileILi192ELi128ELi4ELi8ELb1EEvPKcS1_S1_S1_S1_PKiPfP15HIP_vector_typeIfLj2EEffffjfiS5_IjLj3EEiiiiiiiiiiiliiliiiiil ; -- Begin function _ZL15flash_attn_tileILi192ELi128ELi4ELi8ELb1EEvPKcS1_S1_S1_S1_PKiPfP15HIP_vector_typeIfLj2EEffffjfiS5_IjLj3EEiiiiiiiiiiiliiliiiiil
	.p2align	8
	.type	_ZL15flash_attn_tileILi192ELi128ELi4ELi8ELb1EEvPKcS1_S1_S1_S1_PKiPfP15HIP_vector_typeIfLj2EEffffjfiS5_IjLj3EEiiiiiiiiiiiliiliiiiil,@function
_ZL15flash_attn_tileILi192ELi128ELi4ELi8ELb1EEvPKcS1_S1_S1_S1_PKiPfP15HIP_vector_typeIfLj2EEffffjfiS5_IjLj3EEiiiiiiiiiiiliiliiiiil: ; @_ZL15flash_attn_tileILi192ELi128ELi4ELi8ELb1EEvPKcS1_S1_S1_S1_PKiPfP15HIP_vector_typeIfLj2EEffffjfiS5_IjLj3EEiiiiiiiiiiiliiliiiiil
; %bb.0:
	s_load_dwordx4 s[0:3], s[4:5], 0x5c
	s_load_dwordx2 s[28:29], s[4:5], 0x80
	s_load_dwordx2 s[34:35], s[4:5], 0xb8
	s_mov_b64 s[30:31], 0
	s_waitcnt lgkmcnt(0)
	s_ashr_i32 s9, s3, 31
	s_lshr_b32 s9, s9, 29
	s_add_i32 s9, s3, s9
	s_ashr_i32 s9, s9, 3
	v_cvt_f32_u32_e32 v1, s9
	s_sub_i32 s10, 0, s9
	v_rcp_iflag_f32_e32 v1, v1
	v_mul_f32_e32 v1, 0x4f7ffffe, v1
	v_cvt_u32_f32_e32 v1, v1
	v_readfirstlane_b32 s11, v1
	s_mul_i32 s10, s10, s11
	s_mul_hi_u32 s10, s11, s10
	s_add_i32 s11, s11, s10
	s_mul_hi_u32 s10, s8, s11
	s_mul_i32 s11, s10, s9
	s_sub_i32 s11, s8, s11
	s_add_i32 s12, s10, 1
	s_sub_i32 s13, s11, s9
	s_cmp_ge_u32 s11, s9
	s_cselect_b32 s10, s12, s10
	s_cselect_b32 s11, s13, s11
	s_add_i32 s12, s10, 1
	s_cmp_ge_u32 s11, s9
	s_cselect_b32 s33, s12, s10
	s_abs_i32 s9, s29
	v_cvt_f32_u32_e32 v1, s9
	s_lshl_b32 s8, s8, 3
	s_mul_i32 s12, s33, s3
	s_xor_b32 s10, s3, s29
	v_rcp_iflag_f32_e32 v1, v1
	s_sub_i32 s13, 0, s9
	s_sub_i32 s29, s8, s12
	s_abs_i32 s11, s3
	v_mul_f32_e32 v1, 0x4f7ffffe, v1
	v_cvt_u32_f32_e32 v1, v1
	s_ashr_i32 s10, s10, 31
	v_readfirstlane_b32 s8, v1
	s_mul_i32 s13, s13, s8
	s_mul_hi_u32 s12, s8, s13
	s_add_i32 s8, s8, s12
	s_mul_hi_u32 s8, s11, s8
	s_mul_i32 s12, s8, s9
	s_sub_i32 s11, s11, s12
	s_add_i32 s13, s8, 1
	s_sub_i32 s12, s11, s9
	s_cmp_ge_u32 s11, s9
	s_cselect_b32 s8, s13, s8
	s_cselect_b32 s11, s12, s11
	s_add_i32 s12, s8, 1
	s_cmp_ge_u32 s11, s9
	s_cselect_b32 s8, s12, s8
	s_xor_b32 s8, s8, s10
	s_sub_i32 s37, s8, s10
	s_abs_i32 s36, s37
	v_cvt_f32_u32_e32 v1, s36
	s_load_dwordx16 s[8:23], s[4:5], 0x0
	v_rcp_iflag_f32_e32 v1, v1
	s_waitcnt lgkmcnt(0)
	s_cmp_eq_u64 s[14:15], 0
	v_mul_f32_e32 v1, 0x4f7ffffe, v1
	v_cvt_u32_f32_e32 v1, v1
	v_readfirstlane_b32 s38, v1
	s_cbranch_scc1 .LBB21_2
; %bb.1:
	s_abs_i32 s26, s34
	v_cvt_f32_u32_e32 v1, s26
	s_sub_i32 s31, 0, s26
	s_abs_i32 s30, s33
	s_ashr_i32 s27, s33, 31
	v_rcp_iflag_f32_e32 v1, v1
	s_load_dwordx2 s[24:25], s[4:5], 0xc8
	v_mul_f32_e32 v1, 0x4f7ffffe, v1
	v_cvt_u32_f32_e32 v1, v1
	v_readfirstlane_b32 s34, v1
	s_mul_i32 s31, s31, s34
	s_mul_hi_u32 s31, s34, s31
	s_add_i32 s34, s34, s31
	s_mul_hi_u32 s31, s30, s34
	s_mul_i32 s31, s31, s26
	s_sub_i32 s30, s30, s31
	s_sub_i32 s31, s30, s26
	s_cmp_ge_u32 s30, s26
	s_cselect_b32 s30, s31, s30
	s_sub_i32 s31, s30, s26
	s_cmp_ge_u32 s30, s26
	s_cselect_b32 s26, s31, s30
	s_xor_b32 s26, s26, s27
	s_sub_i32 s26, s26, s27
	s_ashr_i32 s27, s26, 31
	s_waitcnt lgkmcnt(0)
	s_mul_i32 s25, s26, s25
	s_mul_hi_u32 s30, s26, s24
	s_add_i32 s25, s30, s25
	s_mul_i32 s27, s27, s24
	s_add_i32 s25, s25, s27
	s_mul_i32 s26, s26, s24
	s_add_u32 s30, s14, s26
	s_addc_u32 s31, s15, s25
.LBB21_2:
	s_load_dwordx4 s[24:27], s[4:5], 0x70
	v_bfe_u32 v29, v0, 10, 10
	v_lshrrev_b32_e32 v1, 1, v29
	v_lshl_add_u32 v5, s6, 2, v1
	v_and_b32_e32 v4, 0x3ff, v0
	s_waitcnt lgkmcnt(0)
	s_mul_i32 s14, s33, s26
	s_ashr_i32 s26, s14, 31
	v_mul_hi_u32 v0, s0, v5
	s_mul_i32 s15, s29, s25
	s_add_u32 s8, s8, s14
	v_add_u32_e32 v0, v5, v0
	s_addc_u32 s9, s9, s26
	s_ashr_i32 s14, s15, 31
	v_lshrrev_b32_e32 v0, s1, v0
	s_add_u32 s8, s8, s15
	v_mul_lo_u32 v0, v0, s2
	s_addc_u32 s9, s9, s14
	v_sub_u32_e32 v14, v5, v0
	s_ashr_i32 s14, s24, 31
	v_mov_b32_e32 v0, s24
	v_alignbit_b32 v0, s14, v0, 2
	v_mad_u64_u32 v[0:1], s[0:1], v0, v14, 0
	v_mov_b32_e32 v2, v1
	s_lshr_b32 s0, s14, 2
	v_mad_u64_u32 v[2:3], s[0:1], s0, v14, v[2:3]
	v_mov_b32_e32 v1, v2
	v_lshlrev_b64 v[0:1], 2, v[0:1]
	v_mov_b32_e32 v2, s9
	v_add_co_u32_e32 v0, vcc, s8, v0
	v_addc_co_u32_e32 v1, vcc, v2, v1, vcc
	v_lshlrev_b32_e32 v2, 4, v4
	v_lshlrev_b32_e32 v22, 2, v29
	s_ashr_i32 s15, s25, 31
	v_add_co_u32_e32 v2, vcc, v0, v2
	v_mov_b32_e32 v0, s25
	v_and_b32_e32 v7, 4, v22
	s_lshr_b32 s0, s15, 2
	v_alignbit_b32 v0, s15, v0, 2
	v_addc_co_u32_e32 v3, vcc, 0, v1, vcc
	v_mul_lo_u32 v6, s0, v7
	v_mad_u64_u32 v[0:1], s[0:1], v0, v7, 0
	v_or_b32_e32 v1, v1, v6
	v_lshlrev_b64 v[0:1], 2, v[0:1]
	v_add_co_u32_e32 v0, vcc, v2, v0
	v_addc_co_u32_e32 v1, vcc, v3, v1, vcc
	global_load_dwordx4 v[10:13], v[0:1], off
	s_load_dword s8, s[4:5], 0x40
	v_lshlrev_b32_e32 v6, 1, v4
	v_mul_u32_u24_e32 v8, 0x180, v29
	s_mov_b32 s14, s25
	v_add_lshl_u32 v8, v8, v6, 2
	s_waitcnt lgkmcnt(0)
	s_mov_b32 s9, s8
	s_lshr_b64 s[14:15], s[14:15], 2
	v_cmp_gt_u32_e32 vcc, 16, v4
	s_waitcnt vmcnt(0)
	v_pk_mul_f32 v[10:11], v[10:11], s[8:9] op_sel_hi:[1,0]
	v_pk_mul_f32 v[12:13], v[12:13], s[8:9] op_sel_hi:[1,0]
	v_cvt_f16_f32_e32 v9, v11
	v_cvt_f16_f32_e32 v11, v13
	v_cvt_f16_f32_e32 v12, v12
	v_cvt_f16_f32_e32 v10, v10
	v_pack_b32_f16 v11, v12, v11
	v_pack_b32_f16 v10, v10, v9
	ds_write_b64 v8, v[10:11]
	s_and_saveexec_b64 s[0:1], vcc
	s_cbranch_execz .LBB21_4
; %bb.3:
	global_load_dwordx4 v[10:13], v[0:1], off offset:512
	s_waitcnt vmcnt(0)
	v_pk_mul_f32 v[0:1], v[10:11], s[8:9]
	v_pk_mul_f32 v[10:11], v[12:13], s[8:9]
	v_cvt_f16_f32_e32 v1, v1
	v_cvt_f16_f32_e32 v0, v0
	;; [unrolled: 1-line block ×4, first 2 shown]
	v_pack_b32_f16 v0, v0, v1
	v_pack_b32_f16 v1, v10, v9
	ds_write_b64 v8, v[0:1] offset:256
.LBB21_4:
	s_or_b64 exec, exec, s[0:1]
	v_or_b32_e32 v12, 1, v22
	v_and_b32_e32 v9, 5, v12
	v_mad_u64_u32 v[0:1], s[0:1], s14, v9, 0
	v_mov_b32_e32 v8, v1
	v_mad_u64_u32 v[8:9], s[0:1], s15, v9, v[8:9]
	v_mov_b32_e32 v1, v8
	v_lshlrev_b64 v[0:1], 2, v[0:1]
	v_add_co_u32_e64 v0, s[0:1], v2, v0
	v_addc_co_u32_e64 v1, s[0:1], v3, v1, s[0:1]
	global_load_dwordx4 v[8:11], v[0:1], off
	s_waitcnt vmcnt(0)
	v_pk_mul_f32 v[8:9], v[8:9], s[8:9]
	v_pk_mul_f32 v[10:11], v[10:11], s[8:9]
	v_cvt_f16_f32_e32 v13, v9
	v_cvt_f16_f32_e32 v9, v11
	;; [unrolled: 1-line block ×4, first 2 shown]
	v_mul_u32_u24_e32 v11, 0x60, v12
	v_add_lshl_u32 v6, v11, v6, 2
	v_pack_b32_f16 v9, v10, v9
	v_pack_b32_f16 v8, v8, v13
	ds_write_b64 v6, v[8:9]
	s_and_saveexec_b64 s[0:1], vcc
	s_cbranch_execz .LBB21_6
; %bb.5:
	global_load_dwordx4 v[8:11], v[0:1], off offset:512
	s_waitcnt vmcnt(0)
	v_pk_mul_f32 v[0:1], v[8:9], s[8:9]
	v_pk_mul_f32 v[8:9], v[10:11], s[8:9]
	v_cvt_f16_f32_e32 v1, v1
	v_cvt_f16_f32_e32 v0, v0
	;; [unrolled: 1-line block ×4, first 2 shown]
	v_pack_b32_f16 v0, v0, v1
	v_pack_b32_f16 v1, v8, v9
	ds_write_b64 v6, v[0:1] offset:256
.LBB21_6:
	s_or_b64 exec, exec, s[0:1]
	v_or_b32_e32 v0, 2, v22
	v_and_b32_e32 v9, 6, v0
	v_mad_u64_u32 v[0:1], s[0:1], s14, v9, 0
	v_mov_b32_e32 v8, v1
	v_mad_u64_u32 v[8:9], s[0:1], s15, v9, v[8:9]
	v_mov_b32_e32 v1, v8
	v_lshlrev_b64 v[0:1], 2, v[0:1]
	v_add_co_u32_e64 v0, s[0:1], v2, v0
	v_addc_co_u32_e64 v1, s[0:1], v3, v1, s[0:1]
	global_load_dwordx4 v[8:11], v[0:1], off
	s_waitcnt vmcnt(0)
	v_pk_mul_f32 v[8:9], v[8:9], s[8:9]
	v_pk_mul_f32 v[10:11], v[10:11], s[8:9]
	v_cvt_f16_f32_e32 v12, v9
	v_cvt_f16_f32_e32 v9, v11
	;; [unrolled: 1-line block ×4, first 2 shown]
	v_pack_b32_f16 v9, v10, v9
	v_pack_b32_f16 v8, v8, v12
	ds_write_b64 v6, v[8:9] offset:384
	s_and_saveexec_b64 s[0:1], vcc
	s_cbranch_execz .LBB21_8
; %bb.7:
	global_load_dwordx4 v[8:11], v[0:1], off offset:512
	s_waitcnt vmcnt(0)
	v_pk_mul_f32 v[0:1], v[8:9], s[8:9]
	v_pk_mul_f32 v[8:9], v[10:11], s[8:9]
	v_cvt_f16_f32_e32 v1, v1
	v_cvt_f16_f32_e32 v0, v0
	;; [unrolled: 1-line block ×4, first 2 shown]
	v_pack_b32_f16 v0, v0, v1
	v_pack_b32_f16 v1, v8, v9
	ds_write_b64 v6, v[0:1] offset:640
.LBB21_8:
	s_or_b64 exec, exec, s[0:1]
	v_or_b32_e32 v0, 3, v22
	v_and_b32_e32 v9, 7, v0
	v_mad_u64_u32 v[0:1], s[0:1], s14, v9, 0
	v_mov_b32_e32 v8, v1
	v_mad_u64_u32 v[8:9], s[0:1], s15, v9, v[8:9]
	v_mov_b32_e32 v1, v8
	v_lshlrev_b64 v[0:1], 2, v[0:1]
	v_add_co_u32_e64 v0, s[0:1], v2, v0
	v_addc_co_u32_e64 v1, s[0:1], v3, v1, s[0:1]
	global_load_dwordx4 v[8:11], v[0:1], off
	s_waitcnt vmcnt(0)
	v_pk_mul_f32 v[2:3], v[8:9], s[8:9]
	v_pk_mul_f32 v[8:9], v[10:11], s[8:9]
	v_cvt_f16_f32_e32 v10, v3
	v_cvt_f16_f32_e32 v3, v9
	;; [unrolled: 1-line block ×4, first 2 shown]
	v_pack_b32_f16 v3, v8, v3
	v_pack_b32_f16 v2, v2, v10
	ds_write_b64 v6, v[2:3] offset:768
	s_and_saveexec_b64 s[0:1], vcc
	s_cbranch_execz .LBB21_10
; %bb.9:
	global_load_dwordx4 v[0:3], v[0:1], off offset:512
	s_waitcnt vmcnt(0)
	v_pk_mul_f32 v[0:1], v[0:1], s[8:9]
	v_pk_mul_f32 v[2:3], v[2:3], s[8:9]
	v_cvt_f16_f32_e32 v1, v1
	v_cvt_f16_f32_e32 v0, v0
	;; [unrolled: 1-line block ×4, first 2 shown]
	v_pack_b32_f16 v0, v0, v1
	v_pack_b32_f16 v1, v2, v3
	ds_write_b64 v6, v[0:1] offset:1024
.LBB21_10:
	s_or_b64 exec, exec, s[0:1]
	s_cmp_eq_u64 s[18:19], 0
	s_waitcnt lgkmcnt(0)
	s_barrier
	s_cbranch_scc1 .LBB21_12
; %bb.11:
	s_load_dword s0, s[4:5], 0xd0
	s_mov_b32 s1, 0
	s_waitcnt lgkmcnt(0)
	s_mul_i32 s0, s0, s33
	s_add_i32 s0, s0, s6
	s_lshl_b64 s[0:1], s[0:1], 2
	s_add_u32 s0, s18, s0
	s_addc_u32 s1, s19, s1
	s_load_dword s28, s[0:1], 0x0
.LBB21_12:
	s_lshl_b32 s6, s7, 5
	s_waitcnt lgkmcnt(0)
	s_cmp_lt_i32 s6, s28
	v_mbcnt_lo_u32_b32 v36, -1, 0
	s_cbranch_scc1 .LBB21_14
; %bb.13:
	v_mbcnt_hi_u32_b32 v19, -1, v36
	v_and_b32_e32 v0, 0x60, v19
	s_mov_b32 s8, 0
	v_add_u32_e32 v45, 32, v0
	v_xor_b32_e32 v46, 16, v19
	v_xor_b32_e32 v48, 8, v19
	;; [unrolled: 1-line block ×5, first 2 shown]
	s_mov_b64 s[0:1], 0
	s_mov_b32 s9, 0xfeffffff
	s_branch .LBB21_15
.LBB21_14:
	s_mov_b64 s[0:1], -1
                                        ; implicit-def: $sgpr9
                                        ; implicit-def: $sgpr8
                                        ; implicit-def: $vgpr19
                                        ; implicit-def: $vgpr45
                                        ; implicit-def: $vgpr46
                                        ; implicit-def: $vgpr48
                                        ; implicit-def: $vgpr49
                                        ; implicit-def: $vgpr47
                                        ; implicit-def: $vgpr44
.LBB21_15:
	v_lshlrev_b32_e32 v11, 2, v4
	s_andn2_b64 vcc, exec, s[0:1]
	v_mov_b32_e32 v3, s9
	v_mov_b32_e32 v13, s8
	;; [unrolled: 1-line block ×16, first 2 shown]
	s_cbranch_vccnz .LBB21_35
; %bb.16:
	s_sub_i32 s0, 0, s36
	s_mul_i32 s0, s0, s38
	s_mul_hi_u32 s0, s38, s0
	s_add_i32 s38, s38, s0
	s_load_dwordx4 s[24:27], s[4:5], 0x98
	s_load_dword s14, s[4:5], 0x54
	s_load_dwordx2 s[0:1], s[4:5], 0x8c
	s_abs_i32 s19, s29
	s_mul_hi_u32 s34, s19, s38
	s_waitcnt lgkmcnt(0)
	s_ashr_i32 s15, s26, 2
	s_ashr_i32 s26, s35, 1
	;; [unrolled: 1-line block ×4, first 2 shown]
	s_mul_i32 s25, s33, s25
	s_mul_hi_u32 s35, s33, s24
	s_add_i32 s25, s35, s25
	s_mul_i32 s35, s0, s24
	s_ashr_i32 s38, s29, 31
	s_ashr_i32 s37, s37, 31
	s_add_i32 s25, s25, s35
	s_mul_i32 s24, s33, s24
	s_add_u32 s10, s10, s24
	s_addc_u32 s11, s11, s25
	s_mul_i32 s25, s34, s36
	s_sub_i32 s19, s19, s25
	s_xor_b32 s24, s38, s37
	s_add_i32 s25, s34, 1
	s_sub_i32 s35, s19, s36
	s_cmp_ge_u32 s19, s36
	s_cselect_b32 s25, s25, s34
	s_cselect_b32 s19, s35, s19
	s_add_i32 s34, s25, 1
	s_cmp_ge_u32 s19, s36
	s_cselect_b32 s19, s34, s25
	s_load_dwordx2 s[8:9], s[4:5], 0xa8
	s_xor_b32 s19, s19, s24
	s_sub_i32 s19, s19, s24
	s_mul_i32 s1, s19, s1
	s_ashr_i32 s24, s1, 31
	s_add_u32 s1, s10, s1
	s_addc_u32 s10, s11, s24
	s_waitcnt lgkmcnt(0)
	s_mul_i32 s9, s33, s9
	s_mul_hi_u32 s11, s33, s8
	s_add_i32 s9, s11, s9
	s_mul_i32 s0, s0, s8
	s_add_i32 s9, s9, s0
	s_mul_i32 s0, s33, s8
	v_lshrrev_b32_e32 v0, 3, v4
	s_add_u32 s0, s12, s0
	s_mul_i32 s19, s19, s27
	v_add_u32_e32 v0, v22, v0
	s_addc_u32 s8, s13, s9
	s_ashr_i32 s9, s19, 31
	v_and_b32_e32 v1, 28, v11
	v_mul_u32_u24_e32 v2, 0x90, v0
	v_mul_lo_u32 v0, s18, v0
	s_add_u32 s11, s0, s19
	v_lshlrev_b32_e32 v3, 2, v1
	v_ashrrev_i32_e32 v1, 31, v0
	s_addc_u32 s8, s8, s9
	s_movk_i32 s9, 0x3000
	v_lshlrev_b64 v[0:1], 2, v[0:1]
	v_add3_u32 v22, v2, v3, s9
	v_mov_b32_e32 v2, s10
	v_add_co_u32_e32 v0, vcc, s1, v0
	v_addc_co_u32_e32 v1, vcc, v2, v1, vcc
	s_movk_i32 s0, 0x90
	v_add_co_u32_e32 v23, vcc, v0, v3
	v_mov_b32_e32 v0, 0x3000
	v_mad_u32_u24 v25, v4, s0, v0
	v_mov_b32_e32 v0, 0x4200
	v_addc_co_u32_e32 v24, vcc, 0, v1, vcc
	v_lshl_add_u32 v27, v29, 8, v0
	v_lshrrev_b32_e32 v0, 4, v4
	v_and_b32_e32 v1, 60, v11
	v_lshl_add_u32 v0, v29, 1, v0
	v_lshlrev_b32_e32 v2, 2, v1
	v_lshl_or_b32 v1, v0, 8, v2
	v_mul_lo_u32 v0, s15, v0
	v_mul_u32_u24_e32 v26, 0x600, v29
	v_add_u32_e32 v29, 0x3000, v1
	v_ashrrev_i32_e32 v1, 31, v0
	v_lshlrev_b64 v[0:1], 2, v[0:1]
	v_mov_b32_e32 v3, s8
	v_add_co_u32_e32 v0, vcc, s11, v0
	v_mad_u64_u32 v[14:15], s[0:1], v14, s26, v[4:5]
	v_addc_co_u32_e32 v1, vcc, v3, v1, vcc
	v_add_co_u32_e32 v30, vcc, v0, v2
	s_add_u32 s0, s4, 0xd0
	v_mov_b32_e32 v8, 0
	v_lshlrev_b32_e32 v28, 3, v4
	v_addc_co_u32_e32 v31, vcc, 0, v1, vcc
	s_addc_u32 s1, s5, 0
	v_mov_b32_e32 v15, 0
	v_mov_b32_e32 v6, 0
	v_mov_b32_e32 v37, 0xfeffffff
	v_mov_b32_e32 v32, s31
	s_mov_b32 s10, 0x3f200000
	s_mov_b32 s11, 0x3fb8aa3b
	s_mov_b32 s12, 0xc2ce8ed0
	s_mov_b32 s13, 0x42b17218
	v_mov_b32_e32 v33, 0xbd5c1c4e
	v_mov_b32_e32 v34, 0x3e088382
	v_mov_b32_e32 v35, 0xbeaaaa99
	v_mbcnt_hi_u32_b32 v19, -1, v36
	s_brev_b32 s19, -2
	v_mov_b32_e32 v36, 0x7f800000
	v_mov_b32_e32 v21, 0
	;; [unrolled: 1-line block ×13, first 2 shown]
.LBB21_17:                              ; =>This Inner Loop Header: Depth=1
	s_mul_hi_i32 s9, s6, s18
	s_mul_i32 s8, s6, s18
	s_lshl_b64 s[8:9], s[8:9], 2
	v_mov_b32_e32 v1, s9
	v_add_co_u32_e32 v0, vcc, s8, v23
	v_addc_co_u32_e32 v1, vcc, v24, v1, vcc
	global_load_dwordx4 v[46:49], v[0:1], off
	v_mov_b32_e32 v44, 0
	v_mov_b32_e32 v43, 0
	;; [unrolled: 1-line block ×4, first 2 shown]
	s_waitcnt vmcnt(0)
	ds_write_b128 v22, v[46:49]
	s_waitcnt lgkmcnt(0)
	s_barrier
	ds_read_b128 v[46:49], v25
	ds_read_b128 v[50:53], v26
	ds_read_b128 v[54:57], v26 offset:384
	ds_read_b128 v[58:61], v26 offset:768
	ds_read_b128 v[62:65], v26 offset:1152
	s_waitcnt lgkmcnt(3)
	;;#ASMSTART
	v_dot2_f32_f16 v44, v46, v50, v44
	;;#ASMEND
	;;#ASMSTART
	v_dot2_f32_f16 v44, v47, v51, v44
	;;#ASMEND
	;;#ASMSTART
	v_dot2_f32_f16 v44, v48, v52, v44
	;;#ASMEND
	;;#ASMSTART
	v_dot2_f32_f16 v44, v49, v53, v44
	;;#ASMEND
	s_waitcnt lgkmcnt(2)
	;;#ASMSTART
	v_dot2_f32_f16 v43, v46, v54, v43
	;;#ASMEND
	;;#ASMSTART
	v_dot2_f32_f16 v43, v47, v55, v43
	;;#ASMEND
	;;#ASMSTART
	v_dot2_f32_f16 v43, v48, v56, v43
	;;#ASMEND
	;;#ASMSTART
	v_dot2_f32_f16 v43, v49, v57, v43
	;;#ASMEND
	s_waitcnt lgkmcnt(1)
	;;#ASMSTART
	v_dot2_f32_f16 v42, v46, v58, v42
	;;#ASMEND
	;;#ASMSTART
	v_dot2_f32_f16 v42, v47, v59, v42
	;;#ASMEND
	;;#ASMSTART
	v_dot2_f32_f16 v42, v48, v60, v42
	;;#ASMEND
	;;#ASMSTART
	v_dot2_f32_f16 v42, v49, v61, v42
	;;#ASMEND
	s_waitcnt lgkmcnt(0)
	;;#ASMSTART
	v_dot2_f32_f16 v41, v46, v62, v41
	;;#ASMEND
	;;#ASMSTART
	v_dot2_f32_f16 v41, v47, v63, v41
	;;#ASMEND
	;;#ASMSTART
	v_dot2_f32_f16 v41, v48, v64, v41
	;;#ASMEND
	;;#ASMSTART
	v_dot2_f32_f16 v41, v49, v65, v41
	;;#ASMEND
	ds_read_b128 v[46:49], v25 offset:16
	ds_read_b128 v[50:53], v26 offset:16
	ds_read_b128 v[54:57], v26 offset:400
	ds_read_b128 v[58:61], v26 offset:784
	ds_read_b128 v[62:65], v26 offset:1168
	s_waitcnt lgkmcnt(3)
	;;#ASMSTART
	v_dot2_f32_f16 v44, v46, v50, v44
	;;#ASMEND
	;;#ASMSTART
	v_dot2_f32_f16 v44, v47, v51, v44
	;;#ASMEND
	;;#ASMSTART
	v_dot2_f32_f16 v44, v48, v52, v44
	;;#ASMEND
	;;#ASMSTART
	v_dot2_f32_f16 v44, v49, v53, v44
	;;#ASMEND
	s_waitcnt lgkmcnt(2)
	;;#ASMSTART
	v_dot2_f32_f16 v43, v46, v54, v43
	;;#ASMEND
	;;#ASMSTART
	v_dot2_f32_f16 v43, v47, v55, v43
	;;#ASMEND
	;;#ASMSTART
	v_dot2_f32_f16 v43, v48, v56, v43
	;;#ASMEND
	;;#ASMSTART
	v_dot2_f32_f16 v43, v49, v57, v43
	;;#ASMEND
	s_waitcnt lgkmcnt(1)
	;;#ASMSTART
	v_dot2_f32_f16 v42, v46, v58, v42
	;;#ASMEND
	;;#ASMSTART
	v_dot2_f32_f16 v42, v47, v59, v42
	;;#ASMEND
	;;#ASMSTART
	v_dot2_f32_f16 v42, v48, v60, v42
	;;#ASMEND
	;;#ASMSTART
	v_dot2_f32_f16 v42, v49, v61, v42
	;;#ASMEND
	s_waitcnt lgkmcnt(0)
	;;#ASMSTART
	v_dot2_f32_f16 v41, v46, v62, v41
	;;#ASMEND
	;;#ASMSTART
	v_dot2_f32_f16 v41, v47, v63, v41
	;;#ASMEND
	;;#ASMSTART
	v_dot2_f32_f16 v41, v48, v64, v41
	;;#ASMEND
	;;#ASMSTART
	v_dot2_f32_f16 v41, v49, v65, v41
	;;#ASMEND
	ds_read_b128 v[46:49], v25 offset:32
	ds_read_b128 v[50:53], v26 offset:32
	;; [unrolled: 57-line block ×7, first 2 shown]
	ds_read_b128 v[54:57], v26 offset:496
	ds_read_b128 v[58:61], v26 offset:880
	ds_read_b128 v[62:65], v26 offset:1264
	s_waitcnt lgkmcnt(3)
	;;#ASMSTART
	v_dot2_f32_f16 v44, v46, v50, v44
	;;#ASMEND
	;;#ASMSTART
	v_dot2_f32_f16 v44, v47, v51, v44
	;;#ASMEND
	;;#ASMSTART
	v_dot2_f32_f16 v44, v48, v52, v44
	;;#ASMEND
	;;#ASMSTART
	v_dot2_f32_f16 v44, v49, v53, v44
	;;#ASMEND
	s_waitcnt lgkmcnt(2)
	;;#ASMSTART
	v_dot2_f32_f16 v43, v46, v54, v43
	;;#ASMEND
	;;#ASMSTART
	v_dot2_f32_f16 v43, v47, v55, v43
	;;#ASMEND
	;;#ASMSTART
	v_dot2_f32_f16 v43, v48, v56, v43
	;;#ASMEND
	;;#ASMSTART
	v_dot2_f32_f16 v43, v49, v57, v43
	;;#ASMEND
	;; [unrolled: 13-line block ×4, first 2 shown]
	s_barrier
	global_load_dwordx4 v[46:49], v[0:1], off offset:128
	s_waitcnt vmcnt(0)
	ds_write_b128 v22, v[46:49]
	s_waitcnt lgkmcnt(0)
	s_barrier
	ds_read_b128 v[46:49], v25
	ds_read_b128 v[50:53], v26 offset:128
	ds_read_b128 v[54:57], v26 offset:512
	ds_read_b128 v[58:61], v26 offset:896
	ds_read_b128 v[62:65], v26 offset:1280
	s_waitcnt lgkmcnt(3)
	;;#ASMSTART
	v_dot2_f32_f16 v44, v46, v50, v44
	;;#ASMEND
	;;#ASMSTART
	v_dot2_f32_f16 v44, v47, v51, v44
	;;#ASMEND
	;;#ASMSTART
	v_dot2_f32_f16 v44, v48, v52, v44
	;;#ASMEND
	;;#ASMSTART
	v_dot2_f32_f16 v44, v49, v53, v44
	;;#ASMEND
	s_waitcnt lgkmcnt(2)
	;;#ASMSTART
	v_dot2_f32_f16 v43, v46, v54, v43
	;;#ASMEND
	;;#ASMSTART
	v_dot2_f32_f16 v43, v47, v55, v43
	;;#ASMEND
	;;#ASMSTART
	v_dot2_f32_f16 v43, v48, v56, v43
	;;#ASMEND
	;;#ASMSTART
	v_dot2_f32_f16 v43, v49, v57, v43
	;;#ASMEND
	s_waitcnt lgkmcnt(1)
	;;#ASMSTART
	v_dot2_f32_f16 v42, v46, v58, v42
	;;#ASMEND
	;;#ASMSTART
	v_dot2_f32_f16 v42, v47, v59, v42
	;;#ASMEND
	;;#ASMSTART
	v_dot2_f32_f16 v42, v48, v60, v42
	;;#ASMEND
	;;#ASMSTART
	v_dot2_f32_f16 v42, v49, v61, v42
	;;#ASMEND
	s_waitcnt lgkmcnt(0)
	;;#ASMSTART
	v_dot2_f32_f16 v41, v46, v62, v41
	;;#ASMEND
	;;#ASMSTART
	v_dot2_f32_f16 v41, v47, v63, v41
	;;#ASMEND
	;;#ASMSTART
	v_dot2_f32_f16 v41, v48, v64, v41
	;;#ASMEND
	;;#ASMSTART
	v_dot2_f32_f16 v41, v49, v65, v41
	;;#ASMEND
	ds_read_b128 v[46:49], v25 offset:16
	ds_read_b128 v[50:53], v26 offset:144
	ds_read_b128 v[54:57], v26 offset:528
	ds_read_b128 v[58:61], v26 offset:912
	ds_read_b128 v[62:65], v26 offset:1296
	s_waitcnt lgkmcnt(3)
	;;#ASMSTART
	v_dot2_f32_f16 v44, v46, v50, v44
	;;#ASMEND
	;;#ASMSTART
	v_dot2_f32_f16 v44, v47, v51, v44
	;;#ASMEND
	;;#ASMSTART
	v_dot2_f32_f16 v44, v48, v52, v44
	;;#ASMEND
	;;#ASMSTART
	v_dot2_f32_f16 v44, v49, v53, v44
	;;#ASMEND
	s_waitcnt lgkmcnt(2)
	;;#ASMSTART
	v_dot2_f32_f16 v43, v46, v54, v43
	;;#ASMEND
	;;#ASMSTART
	v_dot2_f32_f16 v43, v47, v55, v43
	;;#ASMEND
	;;#ASMSTART
	v_dot2_f32_f16 v43, v48, v56, v43
	;;#ASMEND
	;;#ASMSTART
	v_dot2_f32_f16 v43, v49, v57, v43
	;;#ASMEND
	s_waitcnt lgkmcnt(1)
	;;#ASMSTART
	v_dot2_f32_f16 v42, v46, v58, v42
	;;#ASMEND
	;;#ASMSTART
	v_dot2_f32_f16 v42, v47, v59, v42
	;;#ASMEND
	;;#ASMSTART
	v_dot2_f32_f16 v42, v48, v60, v42
	;;#ASMEND
	;;#ASMSTART
	v_dot2_f32_f16 v42, v49, v61, v42
	;;#ASMEND
	s_waitcnt lgkmcnt(0)
	;;#ASMSTART
	v_dot2_f32_f16 v41, v46, v62, v41
	;;#ASMEND
	;;#ASMSTART
	v_dot2_f32_f16 v41, v47, v63, v41
	;;#ASMEND
	;;#ASMSTART
	v_dot2_f32_f16 v41, v48, v64, v41
	;;#ASMEND
	;;#ASMSTART
	v_dot2_f32_f16 v41, v49, v65, v41
	;;#ASMEND
	ds_read_b128 v[46:49], v25 offset:32
	ds_read_b128 v[50:53], v26 offset:160
	ds_read_b128 v[54:57], v26 offset:544
	ds_read_b128 v[58:61], v26 offset:928
	ds_read_b128 v[62:65], v26 offset:1312
	s_waitcnt lgkmcnt(3)
	;;#ASMSTART
	v_dot2_f32_f16 v44, v46, v50, v44
	;;#ASMEND
	;;#ASMSTART
	v_dot2_f32_f16 v44, v47, v51, v44
	;;#ASMEND
	;;#ASMSTART
	v_dot2_f32_f16 v44, v48, v52, v44
	;;#ASMEND
	;;#ASMSTART
	v_dot2_f32_f16 v44, v49, v53, v44
	;;#ASMEND
	s_waitcnt lgkmcnt(2)
	;;#ASMSTART
	v_dot2_f32_f16 v43, v46, v54, v43
	;;#ASMEND
	;;#ASMSTART
	v_dot2_f32_f16 v43, v47, v55, v43
	;;#ASMEND
	;;#ASMSTART
	v_dot2_f32_f16 v43, v48, v56, v43
	;;#ASMEND
	;;#ASMSTART
	v_dot2_f32_f16 v43, v49, v57, v43
	;;#ASMEND
	s_waitcnt lgkmcnt(1)
	;;#ASMSTART
	v_dot2_f32_f16 v42, v46, v58, v42
	;;#ASMEND
	;;#ASMSTART
	v_dot2_f32_f16 v42, v47, v59, v42
	;;#ASMEND
	;;#ASMSTART
	v_dot2_f32_f16 v42, v48, v60, v42
	;;#ASMEND
	;;#ASMSTART
	v_dot2_f32_f16 v42, v49, v61, v42
	;;#ASMEND
	s_waitcnt lgkmcnt(0)
	;;#ASMSTART
	v_dot2_f32_f16 v41, v46, v62, v41
	;;#ASMEND
	;;#ASMSTART
	v_dot2_f32_f16 v41, v47, v63, v41
	;;#ASMEND
	;;#ASMSTART
	v_dot2_f32_f16 v41, v48, v64, v41
	;;#ASMEND
	;;#ASMSTART
	v_dot2_f32_f16 v41, v49, v65, v41
	;;#ASMEND
	ds_read_b128 v[46:49], v25 offset:48
	ds_read_b128 v[50:53], v26 offset:176
	ds_read_b128 v[54:57], v26 offset:560
	ds_read_b128 v[58:61], v26 offset:944
	ds_read_b128 v[62:65], v26 offset:1328
	s_waitcnt lgkmcnt(3)
	;;#ASMSTART
	v_dot2_f32_f16 v44, v46, v50, v44
	;;#ASMEND
	;;#ASMSTART
	v_dot2_f32_f16 v44, v47, v51, v44
	;;#ASMEND
	;;#ASMSTART
	v_dot2_f32_f16 v44, v48, v52, v44
	;;#ASMEND
	;;#ASMSTART
	v_dot2_f32_f16 v44, v49, v53, v44
	;;#ASMEND
	s_waitcnt lgkmcnt(2)
	;;#ASMSTART
	v_dot2_f32_f16 v43, v46, v54, v43
	;;#ASMEND
	;;#ASMSTART
	v_dot2_f32_f16 v43, v47, v55, v43
	;;#ASMEND
	;;#ASMSTART
	v_dot2_f32_f16 v43, v48, v56, v43
	;;#ASMEND
	;;#ASMSTART
	v_dot2_f32_f16 v43, v49, v57, v43
	;;#ASMEND
	s_waitcnt lgkmcnt(1)
	;;#ASMSTART
	v_dot2_f32_f16 v42, v46, v58, v42
	;;#ASMEND
	;;#ASMSTART
	v_dot2_f32_f16 v42, v47, v59, v42
	;;#ASMEND
	;;#ASMSTART
	v_dot2_f32_f16 v42, v48, v60, v42
	;;#ASMEND
	;;#ASMSTART
	v_dot2_f32_f16 v42, v49, v61, v42
	;;#ASMEND
	s_waitcnt lgkmcnt(0)
	;;#ASMSTART
	v_dot2_f32_f16 v41, v46, v62, v41
	;;#ASMEND
	;;#ASMSTART
	v_dot2_f32_f16 v41, v47, v63, v41
	;;#ASMEND
	;;#ASMSTART
	v_dot2_f32_f16 v41, v48, v64, v41
	;;#ASMEND
	;;#ASMSTART
	v_dot2_f32_f16 v41, v49, v65, v41
	;;#ASMEND
	ds_read_b128 v[46:49], v25 offset:64
	ds_read_b128 v[50:53], v26 offset:192
	ds_read_b128 v[54:57], v26 offset:576
	ds_read_b128 v[58:61], v26 offset:960
	ds_read_b128 v[62:65], v26 offset:1344
	s_waitcnt lgkmcnt(3)
	;;#ASMSTART
	v_dot2_f32_f16 v44, v46, v50, v44
	;;#ASMEND
	;;#ASMSTART
	v_dot2_f32_f16 v44, v47, v51, v44
	;;#ASMEND
	;;#ASMSTART
	v_dot2_f32_f16 v44, v48, v52, v44
	;;#ASMEND
	;;#ASMSTART
	v_dot2_f32_f16 v44, v49, v53, v44
	;;#ASMEND
	s_waitcnt lgkmcnt(2)
	;;#ASMSTART
	v_dot2_f32_f16 v43, v46, v54, v43
	;;#ASMEND
	;;#ASMSTART
	v_dot2_f32_f16 v43, v47, v55, v43
	;;#ASMEND
	;;#ASMSTART
	v_dot2_f32_f16 v43, v48, v56, v43
	;;#ASMEND
	;;#ASMSTART
	v_dot2_f32_f16 v43, v49, v57, v43
	;;#ASMEND
	s_waitcnt lgkmcnt(1)
	;;#ASMSTART
	v_dot2_f32_f16 v42, v46, v58, v42
	;;#ASMEND
	;;#ASMSTART
	v_dot2_f32_f16 v42, v47, v59, v42
	;;#ASMEND
	;;#ASMSTART
	v_dot2_f32_f16 v42, v48, v60, v42
	;;#ASMEND
	;;#ASMSTART
	v_dot2_f32_f16 v42, v49, v61, v42
	;;#ASMEND
	s_waitcnt lgkmcnt(0)
	;;#ASMSTART
	v_dot2_f32_f16 v41, v46, v62, v41
	;;#ASMEND
	;;#ASMSTART
	v_dot2_f32_f16 v41, v47, v63, v41
	;;#ASMEND
	;;#ASMSTART
	v_dot2_f32_f16 v41, v48, v64, v41
	;;#ASMEND
	;;#ASMSTART
	v_dot2_f32_f16 v41, v49, v65, v41
	;;#ASMEND
	ds_read_b128 v[46:49], v25 offset:80
	ds_read_b128 v[50:53], v26 offset:208
	ds_read_b128 v[54:57], v26 offset:592
	ds_read_b128 v[58:61], v26 offset:976
	ds_read_b128 v[62:65], v26 offset:1360
	s_waitcnt lgkmcnt(3)
	;;#ASMSTART
	v_dot2_f32_f16 v44, v46, v50, v44
	;;#ASMEND
	;;#ASMSTART
	v_dot2_f32_f16 v44, v47, v51, v44
	;;#ASMEND
	;;#ASMSTART
	v_dot2_f32_f16 v44, v48, v52, v44
	;;#ASMEND
	;;#ASMSTART
	v_dot2_f32_f16 v44, v49, v53, v44
	;;#ASMEND
	s_waitcnt lgkmcnt(2)
	;;#ASMSTART
	v_dot2_f32_f16 v43, v46, v54, v43
	;;#ASMEND
	;;#ASMSTART
	v_dot2_f32_f16 v43, v47, v55, v43
	;;#ASMEND
	;;#ASMSTART
	v_dot2_f32_f16 v43, v48, v56, v43
	;;#ASMEND
	;;#ASMSTART
	v_dot2_f32_f16 v43, v49, v57, v43
	;;#ASMEND
	s_waitcnt lgkmcnt(1)
	;;#ASMSTART
	v_dot2_f32_f16 v42, v46, v58, v42
	;;#ASMEND
	;;#ASMSTART
	v_dot2_f32_f16 v42, v47, v59, v42
	;;#ASMEND
	;;#ASMSTART
	v_dot2_f32_f16 v42, v48, v60, v42
	;;#ASMEND
	;;#ASMSTART
	v_dot2_f32_f16 v42, v49, v61, v42
	;;#ASMEND
	s_waitcnt lgkmcnt(0)
	;;#ASMSTART
	v_dot2_f32_f16 v41, v46, v62, v41
	;;#ASMEND
	;;#ASMSTART
	v_dot2_f32_f16 v41, v47, v63, v41
	;;#ASMEND
	;;#ASMSTART
	v_dot2_f32_f16 v41, v48, v64, v41
	;;#ASMEND
	;;#ASMSTART
	v_dot2_f32_f16 v41, v49, v65, v41
	;;#ASMEND
	ds_read_b128 v[46:49], v25 offset:96
	ds_read_b128 v[50:53], v26 offset:224
	ds_read_b128 v[54:57], v26 offset:608
	ds_read_b128 v[58:61], v26 offset:992
	ds_read_b128 v[62:65], v26 offset:1376
	s_waitcnt lgkmcnt(3)
	;;#ASMSTART
	v_dot2_f32_f16 v44, v46, v50, v44
	;;#ASMEND
	;;#ASMSTART
	v_dot2_f32_f16 v44, v47, v51, v44
	;;#ASMEND
	;;#ASMSTART
	v_dot2_f32_f16 v44, v48, v52, v44
	;;#ASMEND
	;;#ASMSTART
	v_dot2_f32_f16 v44, v49, v53, v44
	;;#ASMEND
	s_waitcnt lgkmcnt(2)
	;;#ASMSTART
	v_dot2_f32_f16 v43, v46, v54, v43
	;;#ASMEND
	;;#ASMSTART
	v_dot2_f32_f16 v43, v47, v55, v43
	;;#ASMEND
	;;#ASMSTART
	v_dot2_f32_f16 v43, v48, v56, v43
	;;#ASMEND
	;;#ASMSTART
	v_dot2_f32_f16 v43, v49, v57, v43
	;;#ASMEND
	s_waitcnt lgkmcnt(1)
	;;#ASMSTART
	v_dot2_f32_f16 v42, v46, v58, v42
	;;#ASMEND
	;;#ASMSTART
	v_dot2_f32_f16 v42, v47, v59, v42
	;;#ASMEND
	;;#ASMSTART
	v_dot2_f32_f16 v42, v48, v60, v42
	;;#ASMEND
	;;#ASMSTART
	v_dot2_f32_f16 v42, v49, v61, v42
	;;#ASMEND
	s_waitcnt lgkmcnt(0)
	;;#ASMSTART
	v_dot2_f32_f16 v41, v46, v62, v41
	;;#ASMEND
	;;#ASMSTART
	v_dot2_f32_f16 v41, v47, v63, v41
	;;#ASMEND
	;;#ASMSTART
	v_dot2_f32_f16 v41, v48, v64, v41
	;;#ASMEND
	;;#ASMSTART
	v_dot2_f32_f16 v41, v49, v65, v41
	;;#ASMEND
	ds_read_b128 v[46:49], v25 offset:112
	ds_read_b128 v[50:53], v26 offset:240
	ds_read_b128 v[54:57], v26 offset:624
	;; [unrolled: 1-line block ×4, first 2 shown]
	s_waitcnt lgkmcnt(3)
	;;#ASMSTART
	v_dot2_f32_f16 v44, v46, v50, v44
	;;#ASMEND
	;;#ASMSTART
	v_dot2_f32_f16 v44, v47, v51, v44
	;;#ASMEND
	;;#ASMSTART
	v_dot2_f32_f16 v44, v48, v52, v44
	;;#ASMEND
	;;#ASMSTART
	v_dot2_f32_f16 v44, v49, v53, v44
	;;#ASMEND
	s_waitcnt lgkmcnt(2)
	;;#ASMSTART
	v_dot2_f32_f16 v43, v46, v54, v43
	;;#ASMEND
	;;#ASMSTART
	v_dot2_f32_f16 v43, v47, v55, v43
	;;#ASMEND
	;;#ASMSTART
	v_dot2_f32_f16 v43, v48, v56, v43
	;;#ASMEND
	;;#ASMSTART
	v_dot2_f32_f16 v43, v49, v57, v43
	;;#ASMEND
	;; [unrolled: 13-line block ×4, first 2 shown]
	s_barrier
	global_load_dwordx4 v[0:3], v[0:1], off offset:256
	v_add_u32_e32 v62, s6, v14
	v_ashrrev_i32_e32 v63, 31, v62
	v_lshlrev_b64 v[62:63], 1, v[62:63]
	v_add_co_u32_e32 v62, vcc, s30, v62
	v_addc_co_u32_e32 v63, vcc, v32, v63, vcc
	s_waitcnt vmcnt(0)
	ds_write_b128 v22, v[0:3]
	s_waitcnt lgkmcnt(0)
	s_barrier
	ds_read_b128 v[0:3], v25
	ds_read_b128 v[46:49], v26 offset:256
	ds_read_b128 v[50:53], v26 offset:640
	ds_read_b128 v[54:57], v26 offset:1024
	ds_read_b128 v[58:61], v26 offset:1408
	s_waitcnt lgkmcnt(3)
	;;#ASMSTART
	v_dot2_f32_f16 v44, v0, v46, v44
	;;#ASMEND
	;;#ASMSTART
	v_dot2_f32_f16 v44, v1, v47, v44
	;;#ASMEND
	;;#ASMSTART
	v_dot2_f32_f16 v44, v2, v48, v44
	;;#ASMEND
	;;#ASMSTART
	v_dot2_f32_f16 v44, v3, v49, v44
	;;#ASMEND
	s_waitcnt lgkmcnt(2)
	;;#ASMSTART
	v_dot2_f32_f16 v43, v0, v50, v43
	;;#ASMEND
	;;#ASMSTART
	v_dot2_f32_f16 v43, v1, v51, v43
	;;#ASMEND
	;;#ASMSTART
	v_dot2_f32_f16 v43, v2, v52, v43
	;;#ASMEND
	;;#ASMSTART
	v_dot2_f32_f16 v43, v3, v53, v43
	;;#ASMEND
	s_waitcnt lgkmcnt(1)
	;;#ASMSTART
	v_dot2_f32_f16 v42, v0, v54, v42
	;;#ASMEND
	;;#ASMSTART
	v_dot2_f32_f16 v42, v1, v55, v42
	;;#ASMEND
	;;#ASMSTART
	v_dot2_f32_f16 v42, v2, v56, v42
	;;#ASMEND
	;;#ASMSTART
	v_dot2_f32_f16 v42, v3, v57, v42
	;;#ASMEND
	s_waitcnt lgkmcnt(0)
	;;#ASMSTART
	v_dot2_f32_f16 v41, v0, v58, v41
	;;#ASMEND
	;;#ASMSTART
	v_dot2_f32_f16 v41, v1, v59, v41
	;;#ASMEND
	;;#ASMSTART
	v_dot2_f32_f16 v41, v2, v60, v41
	;;#ASMEND
	;;#ASMSTART
	v_dot2_f32_f16 v41, v3, v61, v41
	;;#ASMEND
	ds_read_b128 v[0:3], v25 offset:16
	ds_read_b128 v[46:49], v26 offset:272
	ds_read_b128 v[50:53], v26 offset:656
	ds_read_b128 v[54:57], v26 offset:1040
	ds_read_b128 v[58:61], v26 offset:1424
	s_waitcnt lgkmcnt(3)
	;;#ASMSTART
	v_dot2_f32_f16 v44, v0, v46, v44
	;;#ASMEND
	;;#ASMSTART
	v_dot2_f32_f16 v44, v1, v47, v44
	;;#ASMEND
	;;#ASMSTART
	v_dot2_f32_f16 v44, v2, v48, v44
	;;#ASMEND
	;;#ASMSTART
	v_dot2_f32_f16 v44, v3, v49, v44
	;;#ASMEND
	s_waitcnt lgkmcnt(2)
	;;#ASMSTART
	v_dot2_f32_f16 v43, v0, v50, v43
	;;#ASMEND
	;;#ASMSTART
	v_dot2_f32_f16 v43, v1, v51, v43
	;;#ASMEND
	;;#ASMSTART
	v_dot2_f32_f16 v43, v2, v52, v43
	;;#ASMEND
	;;#ASMSTART
	v_dot2_f32_f16 v43, v3, v53, v43
	;;#ASMEND
	s_waitcnt lgkmcnt(1)
	;;#ASMSTART
	v_dot2_f32_f16 v42, v0, v54, v42
	;;#ASMEND
	;;#ASMSTART
	v_dot2_f32_f16 v42, v1, v55, v42
	;;#ASMEND
	;;#ASMSTART
	v_dot2_f32_f16 v42, v2, v56, v42
	;;#ASMEND
	;;#ASMSTART
	v_dot2_f32_f16 v42, v3, v57, v42
	;;#ASMEND
	s_waitcnt lgkmcnt(0)
	;;#ASMSTART
	v_dot2_f32_f16 v41, v0, v58, v41
	;;#ASMEND
	;;#ASMSTART
	v_dot2_f32_f16 v41, v1, v59, v41
	;;#ASMEND
	;;#ASMSTART
	v_dot2_f32_f16 v41, v2, v60, v41
	;;#ASMEND
	;;#ASMSTART
	v_dot2_f32_f16 v41, v3, v61, v41
	;;#ASMEND
	ds_read_b128 v[0:3], v25 offset:32
	;; [unrolled: 57-line block ×7, first 2 shown]
	ds_read_b128 v[46:49], v26 offset:368
	ds_read_b128 v[50:53], v26 offset:752
	;; [unrolled: 1-line block ×4, first 2 shown]
	s_waitcnt lgkmcnt(3)
	;;#ASMSTART
	v_dot2_f32_f16 v44, v0, v46, v44
	;;#ASMEND
	;;#ASMSTART
	v_dot2_f32_f16 v44, v1, v47, v44
	;;#ASMEND
	;;#ASMSTART
	v_dot2_f32_f16 v44, v2, v48, v44
	;;#ASMEND
	;;#ASMSTART
	v_dot2_f32_f16 v44, v3, v49, v44
	;;#ASMEND
	s_waitcnt lgkmcnt(2)
	;;#ASMSTART
	v_dot2_f32_f16 v43, v0, v50, v43
	;;#ASMEND
	;;#ASMSTART
	v_dot2_f32_f16 v43, v1, v51, v43
	;;#ASMEND
	;;#ASMSTART
	v_dot2_f32_f16 v43, v2, v52, v43
	;;#ASMEND
	;;#ASMSTART
	v_dot2_f32_f16 v43, v3, v53, v43
	;;#ASMEND
	s_waitcnt lgkmcnt(1)
	;;#ASMSTART
	v_dot2_f32_f16 v42, v0, v54, v42
	;;#ASMEND
	;;#ASMSTART
	v_dot2_f32_f16 v42, v1, v55, v42
	;;#ASMEND
	;;#ASMSTART
	v_dot2_f32_f16 v42, v2, v56, v42
	;;#ASMEND
	;;#ASMSTART
	v_dot2_f32_f16 v42, v3, v57, v42
	;;#ASMEND
	s_waitcnt lgkmcnt(0)
	;;#ASMSTART
	v_dot2_f32_f16 v41, v0, v58, v41
	;;#ASMEND
	;;#ASMSTART
	v_dot2_f32_f16 v41, v1, v59, v41
	;;#ASMEND
	;;#ASMSTART
	v_dot2_f32_f16 v41, v2, v60, v41
	;;#ASMEND
	;;#ASMSTART
	v_dot2_f32_f16 v41, v3, v61, v41
	;;#ASMEND
	flat_load_ushort v54, v[62:63]
	v_cmp_nlt_f32_e64 s[8:9], |v44|, s10
                                        ; implicit-def: $vgpr1
	s_and_saveexec_b64 s[24:25], s[8:9]
	s_xor_b64 s[8:9], exec, s[24:25]
	s_cbranch_execz .LBB21_19
; %bb.18:                               ;   in Loop: Header=BB21_17 Depth=1
	v_add_f32_e64 v0, |v44|, |v44|
	v_mul_f32_e32 v1, 0x3fb8aa3b, v0
	v_rndne_f32_e32 v2, v1
	v_sub_f32_e32 v3, v1, v2
	v_fma_f32 v1, v0, s11, -v1
	v_fmac_f32_e32 v1, 0x32a5705f, v0
	v_add_f32_e32 v1, v3, v1
	v_cvt_i32_f32_e32 v2, v2
	v_exp_f32_e32 v1, v1
	v_cmp_ngt_f32_e32 vcc, s12, v0
	v_ldexp_f32 v1, v1, v2
	v_cndmask_b32_e32 v1, 0, v1, vcc
	v_cmp_nlt_f32_e32 vcc, s13, v0
	v_cndmask_b32_e32 v0, v36, v1, vcc
	v_add_f32_e32 v0, 1.0, v0
	v_rcp_f32_e32 v0, v0
	v_fma_f32 v1, v0, -2.0, 1.0
.LBB21_19:                              ;   in Loop: Header=BB21_17 Depth=1
	s_andn2_saveexec_b64 s[8:9], s[8:9]
; %bb.20:                               ;   in Loop: Header=BB21_17 Depth=1
	v_mul_f32_e32 v0, v44, v44
	v_mov_b32_e32 v1, 0x3ca908c9
	v_fmac_f32_e32 v1, 0xbbbac73d, v0
	v_fma_f32 v1, v0, v1, v33
	v_fma_f32 v1, v0, v1, v34
	;; [unrolled: 1-line block ×3, first 2 shown]
	v_mul_f32_e64 v1, |v44|, v1
	v_fma_f32 v1, v0, v1, |v44|
; %bb.21:                               ;   in Loop: Header=BB21_17 Depth=1
	s_or_b64 exec, exec, s[8:9]
	v_and_b32_e32 v0, 0x60, v19
	v_add_u32_e32 v45, 32, v0
	v_xor_b32_e32 v46, 16, v19
	v_bfi_b32 v1, s19, v1, v44
	v_cmp_lt_i32_e32 vcc, v46, v45
	s_waitcnt vmcnt(0) lgkmcnt(0)
	v_fma_mix_f32 v3, v1, s14, v54 op_sel_hi:[0,0,1]
	v_cndmask_b32_e32 v0, v19, v46, vcc
	v_add_f32_e32 v1, 0x40051340, v3
	v_max_f32_e32 v2, v37, v37
	v_lshlrev_b32_e32 v0, 2, v0
	v_max_f32_e32 v1, v2, v1
	ds_bpermute_b32 v2, v0, v1
	v_xor_b32_e32 v48, 8, v19
	v_cmp_lt_i32_e32 vcc, v48, v45
	v_cndmask_b32_e32 v44, v19, v48, vcc
	v_lshlrev_b32_e32 v51, 2, v44
	s_waitcnt lgkmcnt(0)
	v_max_f32_e32 v2, v2, v2
	v_max_f32_e32 v1, v1, v2
	ds_bpermute_b32 v44, v51, v1
	v_xor_b32_e32 v49, 4, v19
	v_cmp_lt_i32_e32 vcc, v49, v45
	v_cndmask_b32_e32 v2, v19, v49, vcc
	v_lshlrev_b32_e32 v2, 2, v2
	s_waitcnt lgkmcnt(0)
	v_max_f32_e32 v44, v44, v44
	;; [unrolled: 8-line block ×4, first 2 shown]
	v_max_f32_e32 v52, v52, v53
	ds_bpermute_b32 v53, v50, v52
	v_cmp_nlt_f32_e64 s[8:9], |v43|, s10
                                        ; implicit-def: $vgpr55
	s_and_saveexec_b64 s[24:25], s[8:9]
	s_xor_b64 s[8:9], exec, s[24:25]
	s_cbranch_execz .LBB21_23
; %bb.22:                               ;   in Loop: Header=BB21_17 Depth=1
	v_add_f32_e64 v55, |v43|, |v43|
	v_mul_f32_e32 v56, 0x3fb8aa3b, v55
	v_rndne_f32_e32 v57, v56
	v_sub_f32_e32 v58, v56, v57
	v_fma_f32 v56, v55, s11, -v56
	v_fmac_f32_e32 v56, 0x32a5705f, v55
	v_add_f32_e32 v56, v58, v56
	v_cvt_i32_f32_e32 v57, v57
	v_exp_f32_e32 v56, v56
	v_cmp_ngt_f32_e32 vcc, s12, v55
	v_ldexp_f32 v56, v56, v57
	v_cndmask_b32_e32 v56, 0, v56, vcc
	v_cmp_nlt_f32_e32 vcc, s13, v55
	v_cndmask_b32_e32 v55, v36, v56, vcc
	v_add_f32_e32 v55, 1.0, v55
	v_rcp_f32_e32 v55, v55
	v_fma_f32 v55, v55, -2.0, 1.0
.LBB21_23:                              ;   in Loop: Header=BB21_17 Depth=1
	s_andn2_saveexec_b64 s[8:9], s[8:9]
; %bb.24:                               ;   in Loop: Header=BB21_17 Depth=1
	v_mul_f32_e32 v55, v43, v43
	v_mov_b32_e32 v56, 0x3ca908c9
	v_fmac_f32_e32 v56, 0xbbbac73d, v55
	v_fma_f32 v56, v55, v56, v33
	v_fma_f32 v56, v55, v56, v34
	;; [unrolled: 1-line block ×3, first 2 shown]
	v_mul_f32_e64 v56, |v43|, v56
	v_fma_f32 v55, v55, v56, |v43|
; %bb.25:                               ;   in Loop: Header=BB21_17 Depth=1
	s_or_b64 exec, exec, s[8:9]
	v_cvt_f32_f16_e32 v54, v54
	v_bfi_b32 v43, s19, v55, v43
	v_max_f32_e32 v56, v40, v40
	v_cmp_nlt_f32_e64 s[8:9], |v42|, s10
	v_fma_f32 v43, s14, v43, v54
	v_add_f32_e32 v55, 0x40051340, v43
	v_max_f32_e32 v55, v56, v55
	ds_bpermute_b32 v56, v0, v55
                                        ; implicit-def: $vgpr57
	s_waitcnt lgkmcnt(0)
	v_max_f32_e32 v56, v56, v56
	v_max_f32_e32 v55, v55, v56
	ds_bpermute_b32 v56, v51, v55
	s_waitcnt lgkmcnt(0)
	v_max_f32_e32 v56, v56, v56
	v_max_f32_e32 v55, v55, v56
	ds_bpermute_b32 v56, v2, v55
	;; [unrolled: 4-line block ×4, first 2 shown]
	s_and_saveexec_b64 s[24:25], s[8:9]
	s_xor_b64 s[8:9], exec, s[24:25]
	s_cbranch_execz .LBB21_27
; %bb.26:                               ;   in Loop: Header=BB21_17 Depth=1
	v_add_f32_e64 v57, |v42|, |v42|
	v_mul_f32_e32 v58, 0x3fb8aa3b, v57
	v_rndne_f32_e32 v59, v58
	v_sub_f32_e32 v60, v58, v59
	v_fma_f32 v58, v57, s11, -v58
	v_fmac_f32_e32 v58, 0x32a5705f, v57
	v_add_f32_e32 v58, v60, v58
	v_cvt_i32_f32_e32 v59, v59
	v_exp_f32_e32 v58, v58
	v_cmp_ngt_f32_e32 vcc, s12, v57
	v_ldexp_f32 v58, v58, v59
	v_cndmask_b32_e32 v58, 0, v58, vcc
	v_cmp_nlt_f32_e32 vcc, s13, v57
	v_cndmask_b32_e32 v57, v36, v58, vcc
	v_add_f32_e32 v57, 1.0, v57
	v_rcp_f32_e32 v57, v57
	v_fma_f32 v57, v57, -2.0, 1.0
.LBB21_27:                              ;   in Loop: Header=BB21_17 Depth=1
	s_andn2_saveexec_b64 s[8:9], s[8:9]
; %bb.28:                               ;   in Loop: Header=BB21_17 Depth=1
	v_mul_f32_e32 v57, v42, v42
	v_mov_b32_e32 v58, 0x3ca908c9
	v_fmac_f32_e32 v58, 0xbbbac73d, v57
	v_fma_f32 v58, v57, v58, v33
	v_fma_f32 v58, v57, v58, v34
	;; [unrolled: 1-line block ×3, first 2 shown]
	v_mul_f32_e64 v58, |v42|, v58
	v_fma_f32 v57, v57, v58, |v42|
; %bb.29:                               ;   in Loop: Header=BB21_17 Depth=1
	s_or_b64 exec, exec, s[8:9]
	v_bfi_b32 v42, s19, v57, v42
	v_fma_f32 v42, s14, v42, v54
	v_add_f32_e32 v57, 0x40051340, v42
	v_max_f32_e32 v58, v38, v38
	v_max_f32_e32 v57, v58, v57
	ds_bpermute_b32 v58, v0, v57
	v_cmp_nlt_f32_e64 s[8:9], |v41|, s10
                                        ; implicit-def: $vgpr59
	s_waitcnt lgkmcnt(0)
	v_max_f32_e32 v58, v58, v58
	v_max_f32_e32 v57, v57, v58
	ds_bpermute_b32 v58, v51, v57
	s_waitcnt lgkmcnt(0)
	v_max_f32_e32 v58, v58, v58
	v_max_f32_e32 v57, v57, v58
	ds_bpermute_b32 v58, v2, v57
	;; [unrolled: 4-line block ×4, first 2 shown]
	s_and_saveexec_b64 s[24:25], s[8:9]
	s_xor_b64 s[8:9], exec, s[24:25]
	s_cbranch_execz .LBB21_31
; %bb.30:                               ;   in Loop: Header=BB21_17 Depth=1
	v_add_f32_e64 v59, |v41|, |v41|
	v_mul_f32_e32 v60, 0x3fb8aa3b, v59
	v_rndne_f32_e32 v61, v60
	v_sub_f32_e32 v62, v60, v61
	v_fma_f32 v60, v59, s11, -v60
	v_fmac_f32_e32 v60, 0x32a5705f, v59
	v_add_f32_e32 v60, v62, v60
	v_cvt_i32_f32_e32 v61, v61
	v_exp_f32_e32 v60, v60
	v_cmp_ngt_f32_e32 vcc, s12, v59
	v_ldexp_f32 v60, v60, v61
	v_cndmask_b32_e32 v60, 0, v60, vcc
	v_cmp_nlt_f32_e32 vcc, s13, v59
	v_cndmask_b32_e32 v59, v36, v60, vcc
	v_add_f32_e32 v59, 1.0, v59
	v_rcp_f32_e32 v59, v59
	v_fma_f32 v59, v59, -2.0, 1.0
.LBB21_31:                              ;   in Loop: Header=BB21_17 Depth=1
	s_andn2_saveexec_b64 s[8:9], s[8:9]
; %bb.32:                               ;   in Loop: Header=BB21_17 Depth=1
	v_mul_f32_e32 v59, v41, v41
	v_mov_b32_e32 v60, 0x3ca908c9
	v_fmac_f32_e32 v60, 0xbbbac73d, v59
	v_fma_f32 v60, v59, v60, v33
	v_fma_f32 v60, v59, v60, v34
	;; [unrolled: 1-line block ×3, first 2 shown]
	v_mul_f32_e64 v60, |v41|, v60
	v_fma_f32 v59, v59, v60, |v41|
; %bb.33:                               ;   in Loop: Header=BB21_17 Depth=1
	s_or_b64 exec, exec, s[8:9]
	v_bfi_b32 v41, s19, v59, v41
	v_fmac_f32_e32 v54, s14, v41
	v_add_f32_e32 v41, 0x40051340, v54
	v_max_f32_e32 v59, v39, v39
	v_max_f32_e32 v41, v59, v41
	ds_bpermute_b32 v0, v0, v41
	s_mul_hi_i32 s9, s6, s15
	s_mul_i32 s8, s6, s15
	s_lshl_b64 s[8:9], s[8:9], 2
	s_waitcnt lgkmcnt(0)
	v_max_f32_e32 v0, v0, v0
	v_max_f32_e32 v0, v41, v0
	ds_bpermute_b32 v41, v51, v0
	v_max_f32_e32 v51, v53, v53
	v_max_f32_e32 v53, v55, v55
	;; [unrolled: 1-line block ×3, first 2 shown]
	s_barrier
	s_waitcnt lgkmcnt(0)
	v_max_f32_e32 v41, v41, v41
	v_max_f32_e32 v0, v0, v41
	ds_bpermute_b32 v2, v2, v0
	v_max_f32_e32 v41, v52, v52
	v_max_f32_e32 v52, v56, v56
	s_waitcnt lgkmcnt(0)
	v_add_u32_e32 v90, 0x3800, v28
	v_max_f32_e32 v2, v2, v2
	v_max_f32_e32 v56, v0, v2
	ds_bpermute_b32 v58, v1, v56
	v_max_f32_e32 v0, v41, v51
	v_max_f32_e32 v1, v53, v52
	v_sub_f32_e32 v52, v3, v0
	v_max_f32_e32 v2, v57, v57
	s_waitcnt lgkmcnt(0)
	v_max_f32_e32 v41, v58, v58
	v_max_f32_e32 v41, v56, v41
	ds_bpermute_b32 v50, v50, v41
	v_sub_f32_e32 v51, v43, v1
	v_mul_f32_e32 v43, 0x3fb8aa3b, v52
	v_max_f32_e32 v2, v2, v55
	v_rndne_f32_e32 v55, v43
	s_waitcnt lgkmcnt(0)
	v_max_f32_e32 v3, v50, v50
	v_max_f32_e32 v3, v41, v3
	v_sub_f32_e32 v41, v54, v3
	v_mul_f32_e32 v50, 0x3fb8aa3b, v41
	v_fma_f32 v53, v41, s11, -v50
	v_rndne_f32_e32 v54, v50
	v_fmac_f32_e32 v53, 0x32a5705f, v41
	v_sub_f32_e32 v50, v50, v54
	v_add_f32_e32 v50, v50, v53
	v_cvt_i32_f32_e32 v54, v54
	v_exp_f32_e32 v50, v50
	v_fma_f32 v53, v52, s11, -v43
	v_fmac_f32_e32 v53, 0x32a5705f, v52
	v_sub_f32_e32 v43, v43, v55
	v_add_f32_e32 v43, v43, v53
	v_ldexp_f32 v50, v50, v54
	v_exp_f32_e32 v53, v43
	v_cvt_i32_f32_e32 v54, v55
	v_cmp_ngt_f32_e32 vcc, s12, v41
	v_cndmask_b32_e32 v43, 0, v50, vcc
	v_mul_f32_e32 v50, 0x3fb8aa3b, v51
	v_cmp_nlt_f32_e32 vcc, s13, v41
	v_ldexp_f32 v41, v53, v54
	v_fma_f32 v53, v51, s11, -v50
	v_rndne_f32_e32 v54, v50
	v_fmac_f32_e32 v53, 0x32a5705f, v51
	v_sub_f32_e32 v50, v50, v54
	v_add_f32_e32 v50, v50, v53
	v_exp_f32_e32 v50, v50
	v_cvt_i32_f32_e32 v53, v54
	v_cndmask_b32_e32 v43, v36, v43, vcc
	v_cmp_ngt_f32_e32 vcc, s12, v52
	v_cndmask_b32_e32 v41, 0, v41, vcc
	v_cmp_nlt_f32_e32 vcc, s13, v52
	v_cndmask_b32_e32 v54, v36, v41, vcc
	v_ldexp_f32 v41, v50, v53
	v_cmp_ngt_f32_e32 vcc, s12, v51
	v_sub_f32_e32 v42, v42, v2
	v_cndmask_b32_e32 v41, 0, v41, vcc
	v_cmp_nlt_f32_e32 vcc, s13, v51
	v_cndmask_b32_e32 v55, v36, v41, vcc
	v_mul_f32_e32 v41, 0x3fb8aa3b, v42
	v_fma_f32 v50, v42, s11, -v41
	v_rndne_f32_e32 v51, v41
	v_fmac_f32_e32 v50, 0x32a5705f, v42
	v_sub_f32_e32 v41, v41, v51
	v_add_f32_e32 v41, v41, v50
	v_cvt_i32_f32_e32 v56, v51
	v_mov_b32_e32 v51, s9
	v_add_co_u32_e32 v50, vcc, s8, v30
	v_addc_co_u32_e32 v51, vcc, v31, v51, vcc
	global_load_dwordx4 v[50:53], v[50:51], off
	v_exp_f32_e32 v41, v41
	v_cmp_ngt_f32_e32 vcc, s12, v42
	v_sub_f32_e32 v40, v40, v1
	v_sub_f32_e32 v37, v37, v0
	v_ldexp_f32 v41, v41, v56
	v_cndmask_b32_e32 v41, 0, v41, vcc
	v_cmp_nlt_f32_e32 vcc, s13, v42
	v_cndmask_b32_e32 v42, v36, v41, vcc
	v_mul_f32_e32 v41, 0x3fb8aa3b, v40
	v_fma_f32 v56, v40, s11, -v41
	v_rndne_f32_e32 v57, v41
	v_fmac_f32_e32 v56, 0x32a5705f, v40
	v_sub_f32_e32 v41, v41, v57
	v_add_f32_e32 v41, v41, v56
	v_exp_f32_e32 v41, v41
	v_cvt_i32_f32_e32 v56, v57
	v_sub_f32_e32 v57, v39, v3
	v_mul_f32_e32 v39, 0x3fb8aa3b, v37
	v_sub_f32_e32 v58, v38, v2
	v_ldexp_f32 v38, v41, v56
	v_fma_f32 v41, v37, s11, -v39
	v_rndne_f32_e32 v56, v39
	v_fmac_f32_e32 v41, 0x32a5705f, v37
	v_sub_f32_e32 v39, v39, v56
	v_add_f32_e32 v39, v39, v41
	v_exp_f32_e32 v41, v39
	v_cvt_i32_f32_e32 v56, v56
	v_cmp_ngt_f32_e32 vcc, s12, v40
	v_cndmask_b32_e32 v38, 0, v38, vcc
	v_cmp_nlt_f32_e32 vcc, s13, v40
	v_cndmask_b32_e32 v39, v36, v38, vcc
	v_ldexp_f32 v38, v41, v56
	v_cvt_f16_f32_e32 v40, v43
	v_cvt_f16_f32_e32 v41, v42
	;; [unrolled: 1-line block ×4, first 2 shown]
	v_cmp_ngt_f32_e32 vcc, s12, v37
	v_pack_b32_f16 v41, v41, v40
	v_cndmask_b32_e32 v38, 0, v38, vcc
	v_pack_b32_f16 v40, v59, v56
	v_mul_f32_e32 v56, 0x3fb8aa3b, v57
	v_fma_f32 v59, v57, s11, -v56
	v_rndne_f32_e32 v60, v56
	v_fmac_f32_e32 v59, 0x32a5705f, v57
	v_sub_f32_e32 v56, v56, v60
	v_add_f32_e32 v56, v56, v59
	v_cvt_i32_f32_e32 v59, v60
	v_mul_f32_e32 v60, 0x3fb8aa3b, v58
	v_fma_f32 v61, v58, s11, -v60
	v_rndne_f32_e32 v62, v60
	v_fmac_f32_e32 v61, 0x32a5705f, v58
	v_sub_f32_e32 v60, v60, v62
	v_exp_f32_e32 v56, v56
	v_add_f32_e32 v60, v60, v61
	v_exp_f32_e32 v60, v60
	v_cvt_i32_f32_e32 v61, v62
	v_cmp_nlt_f32_e32 vcc, s13, v37
	v_cndmask_b32_e32 v38, v36, v38, vcc
	v_ldexp_f32 v56, v56, v59
	v_cmp_ngt_f32_e32 vcc, s12, v57
	v_cndmask_b32_e32 v59, 0, v56, vcc
	v_ldexp_f32 v56, v60, v61
	v_cmp_ngt_f32_e32 vcc, s12, v58
	v_cndmask_b32_e32 v56, 0, v56, vcc
	v_cmp_nlt_f32_e32 vcc, s13, v58
	v_cndmask_b32_e32 v56, v36, v56, vcc
	v_cmp_nlt_f32_e32 vcc, s13, v57
	v_cndmask_b32_e32 v57, v36, v59, vcc
	v_cvt_f16_f32_e32 v37, v38
	v_pk_fma_f32 v[12:13], v[12:13], v[56:57], v[42:43]
	v_pk_fma_f32 v[8:9], v[8:9], v[38:39], v[54:55]
	v_add_u32_e32 v38, v27, v28
	v_add_u32_e32 v42, 0x3000, v28
	v_cvt_f16_f32_e32 v66, v39
	ds_write_b64 v38, v[40:41]
	s_waitcnt vmcnt(0)
	ds_write_b128 v29, v[50:53]
	s_waitcnt lgkmcnt(0)
	s_barrier
	ds_read2_b64 v[38:41], v42 offset1:32
	ds_read_b128 v[50:53], v27
	v_cvt_f16_f32_e32 v67, v56
	v_cvt_f16_f32_e32 v58, v57
	v_pk_mul_f16 v16, v37, v16 op_sel_hi:[0,1]
	v_pk_mul_f16 v10, v66, v10 op_sel_hi:[0,1]
	s_waitcnt lgkmcnt(0)
	v_pk_mul_f16 v43, v38, v50 op_sel_hi:[1,0]
	v_pk_fma_f16 v21, v37, v21, v43 op_sel_hi:[0,1,1]
	v_pk_mul_f16 v37, v38, v50 op_sel:[0,1]
	v_pk_fma_f16 v20, v66, v20, v37 op_sel_hi:[0,1,1]
	v_pk_mul_f16 v37, v38, v51 op_sel_hi:[1,0]
	v_pk_mul_f16 v6, v67, v6 op_sel_hi:[0,1]
	;; [unrolled: 1-line block ×4, first 2 shown]
	ds_read_b128 v[54:57], v27 offset:16
	ds_read_b128 v[58:61], v27 offset:32
	;; [unrolled: 1-line block ×3, first 2 shown]
	v_pk_fma_f16 v18, v67, v18, v37 op_sel_hi:[0,1,1]
	ds_read2_b64 v[66:69], v42 offset0:64 offset1:96
	v_pk_fma_f16 v17, v38, v51, v17 op_sel:[0,1,0]
	v_pk_fma_f16 v16, v39, v50, v16 op_sel_hi:[1,0,1]
	v_pk_fma_f16 v10, v39, v50, v10 op_sel:[0,1,0]
	v_pk_fma_f16 v6, v39, v51, v6 op_sel_hi:[1,0,1]
	;; [unrolled: 2-line block ×6, first 2 shown]
	v_pk_fma_f16 v15, v41, v53, v15 op_sel:[0,1,0]
	ds_read2_b64 v[38:41], v42 offset0:128 offset1:160
	s_waitcnt lgkmcnt(1)
	v_pk_fma_f16 v17, v66, v55, v17 op_sel:[0,1,0]
	v_pk_fma_f16 v16, v67, v54, v16 op_sel_hi:[1,0,1]
	s_or_b32 s8, s6, 16
	v_pk_fma_f16 v17, v68, v57, v17 op_sel:[0,1,0]
	v_pk_fma_f16 v16, v69, v56, v16 op_sel_hi:[1,0,1]
	s_mul_hi_i32 s9, s8, s15
	s_mul_i32 s8, s8, s15
	v_pk_fma_f16 v21, v66, v54, v21 op_sel_hi:[1,0,1]
	v_pk_fma_f16 v20, v66, v54, v20 op_sel:[0,1,0]
	v_pk_fma_f16 v18, v66, v55, v18 op_sel_hi:[1,0,1]
	v_pk_fma_f16 v10, v67, v54, v10 op_sel:[0,1,0]
	;; [unrolled: 2-line block ×3, first 2 shown]
	s_waitcnt lgkmcnt(0)
	v_pk_fma_f16 v17, v38, v59, v17 op_sel:[0,1,0]
	v_pk_fma_f16 v16, v39, v58, v16 op_sel_hi:[1,0,1]
	s_lshl_b64 s[8:9], s[8:9], 2
	v_pk_fma_f16 v21, v68, v56, v21 op_sel_hi:[1,0,1]
	v_pk_fma_f16 v20, v68, v56, v20 op_sel:[0,1,0]
	v_pk_fma_f16 v18, v68, v57, v18 op_sel_hi:[1,0,1]
	v_pk_fma_f16 v10, v69, v56, v10 op_sel:[0,1,0]
	v_pk_fma_f16 v6, v69, v57, v6 op_sel_hi:[1,0,1]
	v_pk_fma_f16 v15, v69, v57, v15 op_sel:[0,1,0]
	v_pk_fma_f16 v37, v40, v61, v17 op_sel:[0,1,0]
	v_pk_fma_f16 v43, v41, v60, v16 op_sel_hi:[1,0,1]
	v_mov_b32_e32 v17, s9
	v_add_co_u32_e32 v16, vcc, s8, v30
	v_pk_fma_f16 v21, v38, v58, v21 op_sel_hi:[1,0,1]
	v_pk_fma_f16 v20, v38, v58, v20 op_sel:[0,1,0]
	v_pk_fma_f16 v18, v38, v59, v18 op_sel_hi:[1,0,1]
	v_pk_fma_f16 v10, v39, v58, v10 op_sel:[0,1,0]
	;; [unrolled: 2-line block ×3, first 2 shown]
	v_addc_co_u32_e32 v17, vcc, v31, v17, vcc
	v_pk_fma_f16 v21, v40, v60, v21 op_sel_hi:[1,0,1]
	v_pk_fma_f16 v20, v40, v60, v20 op_sel:[0,1,0]
	v_pk_fma_f16 v18, v40, v61, v18 op_sel_hi:[1,0,1]
	v_pk_fma_f16 v10, v41, v60, v10 op_sel:[0,1,0]
	;; [unrolled: 2-line block ×3, first 2 shown]
	ds_read2_b64 v[38:41], v42 offset0:192 offset1:224
	ds_read2_b64 v[50:53], v90 offset1:32
	ds_read2_b64 v[54:57], v90 offset0:64 offset1:96
	ds_read_b128 v[58:61], v27 offset:64
	ds_read_b128 v[66:69], v27 offset:80
	ds_read2_b64 v[70:73], v90 offset0:128 offset1:160
	ds_read2_b64 v[74:77], v90 offset0:192 offset1:224
	ds_read_b128 v[78:81], v27 offset:96
	ds_read_b128 v[82:85], v27 offset:112
	s_waitcnt lgkmcnt(0)
	s_barrier
	global_load_dwordx4 v[86:89], v[16:17], off
	v_pk_fma_f16 v16, v38, v62, v21 op_sel_hi:[1,0,1]
	v_pk_fma_f16 v17, v38, v62, v20 op_sel:[0,1,0]
	v_pk_fma_f16 v18, v38, v63, v18 op_sel_hi:[1,0,1]
	v_pk_fma_f16 v20, v38, v63, v37 op_sel:[0,1,0]
	;; [unrolled: 2-line block ×39, first 2 shown]
	v_pk_fma_f16 v6, v77, v85, v6 op_sel_hi:[1,0,1]
	s_waitcnt vmcnt(0)
	ds_write_b128 v29, v[86:89]
	s_waitcnt lgkmcnt(0)
	s_barrier
	ds_read2_b64 v[38:41], v42 offset1:32
	ds_read_b128 v[50:53], v27 offset:128
	v_pk_fma_f16 v15, v77, v85, v15 op_sel:[0,1,0]
	ds_read_b128 v[54:57], v27 offset:144
	ds_read_b128 v[58:61], v27 offset:160
	;; [unrolled: 1-line block ×3, first 2 shown]
	ds_read2_b64 v[66:69], v42 offset0:64 offset1:96
	s_waitcnt lgkmcnt(4)
	v_pk_fma_f16 v16, v38, v50, v16 op_sel_hi:[1,0,1]
	v_pk_fma_f16 v17, v38, v50, v17 op_sel:[0,1,0]
	v_pk_fma_f16 v18, v38, v51, v18 op_sel_hi:[1,0,1]
	v_pk_fma_f16 v20, v38, v51, v20 op_sel:[0,1,0]
	;; [unrolled: 2-line block ×8, first 2 shown]
	ds_read2_b64 v[38:41], v42 offset0:128 offset1:160
	ds_read2_b64 v[50:53], v42 offset0:192 offset1:224
	s_waitcnt lgkmcnt(2)
	v_pk_fma_f16 v16, v66, v54, v16 op_sel_hi:[1,0,1]
	v_pk_fma_f16 v17, v66, v54, v17 op_sel:[0,1,0]
	v_pk_fma_f16 v18, v66, v55, v18 op_sel_hi:[1,0,1]
	v_pk_fma_f16 v20, v66, v55, v20 op_sel:[0,1,0]
	;; [unrolled: 2-line block ×8, first 2 shown]
	s_waitcnt lgkmcnt(1)
	v_pk_fma_f16 v16, v38, v58, v16 op_sel_hi:[1,0,1]
	v_pk_fma_f16 v17, v38, v58, v17 op_sel:[0,1,0]
	v_pk_fma_f16 v18, v38, v59, v18 op_sel_hi:[1,0,1]
	v_pk_fma_f16 v20, v38, v59, v20 op_sel:[0,1,0]
	;; [unrolled: 2-line block ×8, first 2 shown]
	ds_read2_b64 v[38:41], v90 offset1:32
	ds_read_b128 v[54:57], v27 offset:192
	s_waitcnt lgkmcnt(2)
	v_pk_fma_f16 v16, v50, v62, v16 op_sel_hi:[1,0,1]
	v_pk_fma_f16 v17, v50, v62, v17 op_sel:[0,1,0]
	v_pk_fma_f16 v18, v50, v63, v18 op_sel_hi:[1,0,1]
	v_pk_fma_f16 v20, v50, v63, v20 op_sel:[0,1,0]
	;; [unrolled: 2-line block ×8, first 2 shown]
	ds_read_b128 v[50:53], v27 offset:208
	ds_read2_b64 v[58:61], v90 offset0:64 offset1:96
	s_waitcnt lgkmcnt(2)
	v_pk_fma_f16 v16, v38, v54, v16 op_sel_hi:[1,0,1]
	v_pk_fma_f16 v17, v38, v54, v17 op_sel:[0,1,0]
	v_pk_fma_f16 v18, v38, v55, v18 op_sel_hi:[1,0,1]
	v_pk_fma_f16 v20, v38, v55, v20 op_sel:[0,1,0]
	;; [unrolled: 2-line block ×8, first 2 shown]
	s_waitcnt lgkmcnt(0)
	v_pk_fma_f16 v16, v58, v50, v16 op_sel_hi:[1,0,1]
	v_pk_fma_f16 v17, v58, v50, v17 op_sel:[0,1,0]
	v_pk_fma_f16 v18, v58, v51, v18 op_sel_hi:[1,0,1]
	v_pk_fma_f16 v20, v58, v51, v20 op_sel:[0,1,0]
	;; [unrolled: 2-line block ×4, first 2 shown]
	ds_read2_b64 v[38:41], v90 offset0:128 offset1:160
	ds_read_b128 v[54:57], v27 offset:224
	v_pk_fma_f16 v16, v60, v52, v16 op_sel_hi:[1,0,1]
	v_pk_fma_f16 v17, v60, v52, v17 op_sel:[0,1,0]
	v_pk_fma_f16 v18, v60, v53, v18 op_sel_hi:[1,0,1]
	v_pk_fma_f16 v20, v60, v53, v20 op_sel:[0,1,0]
	;; [unrolled: 2-line block ×4, first 2 shown]
	ds_read_b128 v[50:53], v27 offset:240
	ds_read2_b64 v[58:61], v90 offset0:192 offset1:224
	s_waitcnt lgkmcnt(0)
	s_barrier
	s_load_dword s8, s[0:1], 0x4
	v_pk_fma_f16 v16, v38, v54, v16 op_sel_hi:[1,0,1]
	v_pk_fma_f16 v17, v38, v54, v17 op_sel:[0,1,0]
	v_pk_fma_f16 v18, v38, v55, v18 op_sel_hi:[1,0,1]
	v_pk_fma_f16 v20, v38, v55, v20 op_sel:[0,1,0]
	v_pk_fma_f16 v21, v39, v54, v21 op_sel_hi:[1,0,1]
	v_pk_fma_f16 v10, v39, v54, v10 op_sel:[0,1,0]
	v_pk_fma_f16 v6, v39, v55, v6 op_sel_hi:[1,0,1]
	v_pk_fma_f16 v15, v39, v55, v15 op_sel:[0,1,0]
	v_pk_fma_f16 v16, v40, v56, v16 op_sel_hi:[1,0,1]
	v_pk_fma_f16 v17, v40, v56, v17 op_sel:[0,1,0]
	v_pk_fma_f16 v18, v40, v57, v18 op_sel_hi:[1,0,1]
	v_pk_fma_f16 v20, v40, v57, v20 op_sel:[0,1,0]
	v_pk_fma_f16 v21, v41, v56, v21 op_sel_hi:[1,0,1]
	v_pk_fma_f16 v10, v41, v56, v10 op_sel:[0,1,0]
	v_pk_fma_f16 v6, v41, v57, v6 op_sel_hi:[1,0,1]
	v_pk_fma_f16 v15, v41, v57, v15 op_sel:[0,1,0]
	s_waitcnt lgkmcnt(0)
	s_lshl_b32 s8, s8, 5
	v_pk_fma_f16 v16, v58, v50, v16 op_sel_hi:[1,0,1]
	v_pk_fma_f16 v17, v58, v50, v17 op_sel:[0,1,0]
	v_pk_fma_f16 v18, v58, v51, v18 op_sel_hi:[1,0,1]
	v_pk_fma_f16 v37, v58, v51, v20 op_sel:[0,1,0]
	;; [unrolled: 2-line block ×4, first 2 shown]
	s_add_i32 s6, s8, s6
	v_pk_fma_f16 v21, v60, v52, v16 op_sel_hi:[1,0,1]
	v_pk_fma_f16 v20, v60, v52, v17 op_sel:[0,1,0]
	v_pk_fma_f16 v18, v60, v53, v18 op_sel_hi:[1,0,1]
	v_pk_fma_f16 v17, v60, v53, v37 op_sel:[0,1,0]
	;; [unrolled: 2-line block ×3, first 2 shown]
	v_pk_fma_f16 v6, v61, v53, v6 op_sel_hi:[1,0,1]
	s_cmp_ge_i32 s6, s28
	v_pk_fma_f16 v15, v61, v53, v15 op_sel:[0,1,0]
	s_cbranch_scc1 .LBB21_35
; %bb.34:                               ;   in Loop: Header=BB21_17 Depth=1
	v_mov_b32_e32 v37, v0
	v_mov_b32_e32 v40, v1
	;; [unrolled: 1-line block ×4, first 2 shown]
	s_branch .LBB21_17
.LBB21_35:
	v_cmp_lt_i32_e32 vcc, v46, v45
	v_cndmask_b32_e32 v14, v19, v46, vcc
	v_cmp_lt_i32_e32 vcc, v48, v45
	v_cndmask_b32_e32 v22, v19, v48, vcc
	v_cmp_lt_i32_e32 vcc, v49, v45
	v_lshlrev_b32_e32 v14, 2, v14
	v_lshlrev_b32_e32 v26, 2, v22
	v_cndmask_b32_e32 v22, v19, v49, vcc
	v_lshlrev_b32_e32 v27, 2, v22
	ds_bpermute_b32 v22, v14, v8
	ds_bpermute_b32 v23, v14, v9
	;; [unrolled: 1-line block ×4, first 2 shown]
	v_cmp_lt_i32_e32 vcc, v47, v45
	v_cndmask_b32_e32 v14, v19, v47, vcc
	s_waitcnt lgkmcnt(2)
	v_pk_add_f32 v[8:9], v[8:9], v[22:23]
	ds_bpermute_b32 v22, v26, v8
	s_waitcnt lgkmcnt(1)
	v_pk_add_f32 v[12:13], v[12:13], v[24:25]
	ds_bpermute_b32 v23, v26, v9
	ds_bpermute_b32 v24, v26, v12
	;; [unrolled: 1-line block ×3, first 2 shown]
	v_lshlrev_b32_e32 v14, 2, v14
	v_cmp_lt_i32_e32 vcc, v44, v45
	s_waitcnt lgkmcnt(2)
	v_pk_add_f32 v[8:9], v[8:9], v[22:23]
	ds_bpermute_b32 v22, v27, v8
	s_waitcnt lgkmcnt(1)
	v_pk_add_f32 v[12:13], v[12:13], v[24:25]
	ds_bpermute_b32 v23, v27, v9
	ds_bpermute_b32 v24, v27, v12
	ds_bpermute_b32 v25, v27, v13
	v_cndmask_b32_e32 v19, v19, v44, vcc
	s_cmp_lg_u64 s[16:17], 0
	s_waitcnt lgkmcnt(2)
	v_pk_add_f32 v[8:9], v[8:9], v[22:23]
	ds_bpermute_b32 v22, v14, v8
	s_waitcnt lgkmcnt(1)
	v_pk_add_f32 v[12:13], v[12:13], v[24:25]
	ds_bpermute_b32 v23, v14, v9
	ds_bpermute_b32 v24, v14, v12
	;; [unrolled: 1-line block ×3, first 2 shown]
	v_lshlrev_b32_e32 v14, 2, v19
	s_cselect_b64 s[0:1], -1, 0
	s_waitcnt lgkmcnt(2)
	v_pk_add_f32 v[8:9], v[8:9], v[22:23]
	ds_bpermute_b32 v22, v14, v8
	s_waitcnt lgkmcnt(1)
	v_pk_add_f32 v[24:25], v[12:13], v[24:25]
	ds_bpermute_b32 v23, v14, v9
	ds_bpermute_b32 v26, v14, v24
	;; [unrolled: 1-line block ×3, first 2 shown]
	s_cmp_eq_u32 s7, 0
	s_cselect_b64 s[8:9], -1, 0
	s_and_b64 s[0:1], s[8:9], s[0:1]
	s_waitcnt lgkmcnt(2)
	v_pk_add_f32 v[12:13], v[8:9], v[22:23]
	s_waitcnt lgkmcnt(0)
	v_pk_add_f32 v[8:9], v[24:25], v[26:27]
	s_and_b64 vcc, exec, s[0:1]
	s_cbranch_vccz .LBB21_37
; %bb.36:
	v_add_u32_e32 v22, s29, v7
	v_ashrrev_i32_e32 v23, 31, v22
	v_lshlrev_b64 v[22:23], 2, v[22:23]
	v_mov_b32_e32 v14, s17
	v_add_co_u32_e32 v22, vcc, s16, v22
	v_addc_co_u32_e32 v23, vcc, v14, v23, vcc
	global_load_dwordx4 v[22:25], v[22:23], off
	v_max_f32_e32 v14, v1, v1
	v_max_f32_e32 v19, v0, v0
	;; [unrolled: 1-line block ×4, first 2 shown]
	s_mov_b32 s6, 0x3fb8aa3b
	s_mov_b32 s0, 0xc2ce8ed0
	;; [unrolled: 1-line block ×3, first 2 shown]
	v_mov_b32_e32 v30, 0x7f800000
	s_waitcnt vmcnt(0)
	v_max_f32_e32 v26, v23, v23
	v_max_f32_e32 v29, v22, v22
	;; [unrolled: 1-line block ×6, first 2 shown]
	v_pk_add_f32 v[0:1], v[0:1], v[26:27] neg_lo:[0,1] neg_hi:[0,1]
	v_max_f32_e32 v29, v28, v32
	v_max_f32_e32 v28, v31, v33
	v_mul_f32_e32 v14, 0x3fb8aa3b, v1
	v_pk_add_f32 v[2:3], v[2:3], v[28:29] neg_lo:[0,1] neg_hi:[0,1]
	v_mul_f32_e32 v19, 0x3fb8aa3b, v0
	v_fma_f32 v35, v1, s6, -v14
	v_rndne_f32_e32 v36, v14
	v_mul_f32_e32 v31, 0x3fb8aa3b, v3
	v_fma_f32 v37, v0, s6, -v19
	v_rndne_f32_e32 v38, v19
	v_fmac_f32_e32 v35, 0x32a5705f, v1
	v_sub_f32_e32 v14, v14, v36
	v_mul_f32_e32 v32, 0x3fb8aa3b, v2
	v_fma_f32 v39, v3, s6, -v31
	v_rndne_f32_e32 v40, v31
	v_fmac_f32_e32 v37, 0x32a5705f, v0
	v_sub_f32_e32 v19, v19, v38
	v_add_f32_e32 v14, v14, v35
	v_fma_f32 v41, v2, s6, -v32
	v_rndne_f32_e32 v42, v32
	v_cvt_i32_f32_e32 v36, v36
	v_fmac_f32_e32 v39, 0x32a5705f, v3
	v_sub_f32_e32 v31, v31, v40
	v_add_f32_e32 v19, v19, v37
	v_exp_f32_e32 v14, v14
	v_cvt_i32_f32_e32 v38, v38
	v_fmac_f32_e32 v41, 0x32a5705f, v2
	v_sub_f32_e32 v32, v32, v42
	v_add_f32_e32 v31, v31, v39
	v_exp_f32_e32 v19, v19
	v_cvt_i32_f32_e32 v40, v40
	v_add_f32_e32 v32, v32, v41
	v_exp_f32_e32 v31, v31
	v_cvt_i32_f32_e32 v42, v42
	v_exp_f32_e32 v32, v32
	v_ldexp_f32 v14, v14, v36
	v_cmp_ngt_f32_e32 vcc, s0, v1
	v_ldexp_f32 v19, v19, v38
	v_cndmask_b32_e32 v14, 0, v14, vcc
	v_cmp_ngt_f32_e32 vcc, s0, v0
	v_ldexp_f32 v31, v31, v40
	v_cndmask_b32_e32 v19, 0, v19, vcc
	;; [unrolled: 3-line block ×3, first 2 shown]
	v_cmp_ngt_f32_e32 vcc, s0, v2
	v_cndmask_b32_e32 v32, 0, v32, vcc
	v_cmp_nlt_f32_e32 vcc, s1, v1
	v_cndmask_b32_e32 v1, v30, v14, vcc
	v_cmp_nlt_f32_e32 vcc, s1, v0
	;; [unrolled: 2-line block ×4, first 2 shown]
	v_cndmask_b32_e32 v2, v30, v32, vcc
	v_cvt_f16_f32_e32 v14, v0
	v_cvt_f16_f32_e32 v19, v1
	v_pk_add_f32 v[24:25], v[24:25], v[28:29] neg_lo:[0,1] neg_hi:[0,1]
	v_cvt_f16_f32_e32 v31, v2
	v_mul_f32_e32 v33, 0x3fb8aa3b, v25
	v_mul_f32_e32 v34, 0x3fb8aa3b, v24
	v_fma_f32 v43, v25, s6, -v33
	v_rndne_f32_e32 v44, v33
	v_fmac_f32_e32 v43, 0x32a5705f, v25
	v_sub_f32_e32 v33, v33, v44
	v_pk_mul_f16 v21, v14, v21 op_sel_hi:[0,1]
	v_pk_mul_f16 v16, v14, v16 op_sel_hi:[0,1]
	;; [unrolled: 1-line block ×4, first 2 shown]
	v_fma_f32 v14, v24, s6, -v34
	v_rndne_f32_e32 v19, v34
	v_add_f32_e32 v33, v33, v43
	v_pk_mul_f16 v18, v31, v18 op_sel_hi:[0,1]
	v_pk_mul_f16 v6, v31, v6 op_sel_hi:[0,1]
	v_fmac_f32_e32 v14, 0x32a5705f, v24
	v_sub_f32_e32 v31, v34, v19
	v_cvt_i32_f32_e32 v44, v44
	v_exp_f32_e32 v33, v33
	v_add_f32_e32 v14, v31, v14
	v_exp_f32_e32 v14, v14
	v_cvt_i32_f32_e32 v19, v19
	v_cvt_f16_f32_e32 v32, v3
	v_pk_add_f32 v[22:23], v[22:23], v[26:27] neg_lo:[0,1] neg_hi:[0,1]
	v_ldexp_f32 v33, v33, v44
	v_cmp_ngt_f32_e32 vcc, s0, v25
	v_cndmask_b32_e32 v31, 0, v33, vcc
	v_cmp_nlt_f32_e32 vcc, s1, v25
	v_ldexp_f32 v14, v14, v19
	v_mul_f32_e32 v19, 0x3fb8aa3b, v23
	v_pk_mul_f16 v17, v32, v17 op_sel_hi:[0,1]
	v_pk_mul_f16 v15, v32, v15 op_sel_hi:[0,1]
	v_cndmask_b32_e32 v25, v30, v31, vcc
	v_fma_f32 v31, v23, s6, -v19
	v_rndne_f32_e32 v32, v19
	v_fmac_f32_e32 v31, 0x32a5705f, v23
	v_sub_f32_e32 v19, v19, v32
	v_add_f32_e32 v19, v19, v31
	v_exp_f32_e32 v19, v19
	v_cvt_i32_f32_e32 v31, v32
	v_cmp_ngt_f32_e32 vcc, s0, v24
	v_cndmask_b32_e32 v14, 0, v14, vcc
	v_cmp_nlt_f32_e32 vcc, s1, v24
	v_cndmask_b32_e32 v24, v30, v14, vcc
	v_ldexp_f32 v14, v19, v31
	v_mul_f32_e32 v19, 0x3fb8aa3b, v22
	v_fma_f32 v31, v22, s6, -v19
	v_rndne_f32_e32 v32, v19
	v_fmac_f32_e32 v31, 0x32a5705f, v22
	v_sub_f32_e32 v19, v19, v32
	v_add_f32_e32 v19, v19, v31
	v_exp_f32_e32 v19, v19
	v_cvt_i32_f32_e32 v31, v32
	v_cmp_ngt_f32_e32 vcc, s0, v23
	v_cndmask_b32_e32 v14, 0, v14, vcc
	v_cmp_nlt_f32_e32 vcc, s1, v23
	v_cndmask_b32_e32 v23, v30, v14, vcc
	v_ldexp_f32 v14, v19, v31
	v_cmp_ngt_f32_e32 vcc, s0, v22
	v_cndmask_b32_e32 v14, 0, v14, vcc
	v_cmp_nlt_f32_e32 vcc, s1, v22
	v_cndmask_b32_e32 v22, v30, v14, vcc
	v_pk_fma_f32 v[8:9], v[8:9], v[2:3], v[24:25]
	v_pk_fma_f32 v[12:13], v[12:13], v[0:1], v[22:23]
	v_pk_mov_b32 v[0:1], v[26:27], v[26:27] op_sel:[0,1]
	v_pk_mov_b32 v[2:3], v[28:29], v[28:29] op_sel:[0,1]
.LBB21_37:
	v_cmp_gt_i32_e32 vcc, s2, v5
	s_and_saveexec_b64 s[0:1], vcc
	s_cbranch_execz .LBB21_54
; %bb.38:
	s_load_dword s6, s[4:5], 0xd4
	v_mov_b32_e32 v14, 1.0
	s_waitcnt lgkmcnt(0)
	s_cmp_lg_u32 s6, 1
	s_cselect_b64 s[0:1], -1, 0
	s_cmp_eq_u32 s6, 1
	s_cselect_b64 s[4:5], -1, 0
	s_and_b64 vcc, exec, s[0:1]
	s_cbranch_vccnz .LBB21_40
; %bb.39:
	v_div_scale_f32 v14, s[8:9], v12, v12, 1.0
	v_rcp_f32_e32 v19, v14
	v_div_scale_f32 v22, vcc, 1.0, v12, 1.0
	v_fma_f32 v23, -v14, v19, 1.0
	v_fmac_f32_e32 v19, v23, v19
	v_mul_f32_e32 v23, v22, v19
	v_fma_f32 v24, -v14, v23, v22
	v_fmac_f32_e32 v23, v24, v19
	v_fma_f32 v14, -v14, v23, v22
	v_div_fmas_f32 v14, v14, v19, v23
	v_div_fixup_f32 v14, v14, v12, 1.0
.LBB21_40:
	s_mul_i32 s33, s33, s2
	v_add_u32_e32 v5, s33, v5
	v_mul_lo_u32 v5, v5, s3
	v_add3_u32 v5, s29, v7, v5
	v_cmp_eq_u32_e32 vcc, 0, v4
	v_mul_lo_u32 v4, s6, v5
	v_add_u32_e32 v4, s7, v4
	v_cvt_f32_f16_sdwa v25, v21 dst_sel:DWORD dst_unused:UNUSED_PAD src0_sel:WORD_1
	v_cvt_f32_f16_e32 v24, v21
	v_cvt_f32_f16_sdwa v27, v16 dst_sel:DWORD dst_unused:UNUSED_PAD src0_sel:WORD_1
	v_cvt_f32_f16_e32 v26, v16
	v_lshl_add_u32 v22, v4, 7, v11
	v_mov_b32_e32 v23, 0
	v_lshlrev_b64 v[22:23], 2, v[22:23]
	s_and_b64 s[2:3], vcc, s[0:1]
	v_mov_b32_e32 v5, s21
	v_add_co_u32_e32 v28, vcc, s20, v22
	v_addc_co_u32_e32 v29, vcc, v5, v23, vcc
	v_pk_mul_f32 v[22:23], v[14:15], v[24:25] op_sel_hi:[0,1]
	v_pk_mul_f32 v[24:25], v[14:15], v[26:27] op_sel_hi:[0,1]
	global_store_dwordx4 v[28:29], v[22:25], off
	s_and_saveexec_b64 s[0:1], s[2:3]
	s_cbranch_execz .LBB21_42
; %bb.41:
	v_ashrrev_i32_e32 v5, 31, v4
	v_lshlrev_b64 v[22:23], 3, v[4:5]
	v_mov_b32_e32 v5, s23
	v_add_co_u32_e32 v22, vcc, s22, v22
	v_addc_co_u32_e32 v23, vcc, v5, v23, vcc
	v_mov_b32_e32 v24, v0
	v_mov_b32_e32 v25, v12
	global_store_dwordx2 v[22:23], v[24:25], off
.LBB21_42:
	s_or_b64 exec, exec, s[0:1]
	v_cndmask_b32_e64 v0, 0, 1, s[4:5]
	v_cmp_ne_u32_e64 s[0:1], 1, v0
	s_andn2_b64 vcc, exec, s[4:5]
	v_mov_b32_e32 v0, 1.0
	s_cbranch_vccnz .LBB21_44
; %bb.43:
	v_div_scale_f32 v0, s[4:5], v13, v13, 1.0
	v_rcp_f32_e32 v5, v0
	v_div_scale_f32 v7, vcc, 1.0, v13, 1.0
	v_fma_f32 v12, -v0, v5, 1.0
	v_fmac_f32_e32 v5, v12, v5
	v_mul_f32_e32 v12, v7, v5
	v_fma_f32 v14, -v0, v12, v7
	v_fmac_f32_e32 v12, v14, v5
	v_fma_f32 v0, -v0, v12, v7
	v_div_fmas_f32 v0, v0, v5, v12
	v_div_fixup_f32 v0, v0, v13, 1.0
.LBB21_44:
	v_add_u32_e32 v4, s6, v4
	v_cvt_f32_f16_sdwa v21, v20 dst_sel:DWORD dst_unused:UNUSED_PAD src0_sel:WORD_1
	v_cvt_f32_f16_e32 v20, v20
	v_cvt_f32_f16_sdwa v25, v10 dst_sel:DWORD dst_unused:UNUSED_PAD src0_sel:WORD_1
	v_cvt_f32_f16_e32 v24, v10
	v_lshl_add_u32 v22, v4, 7, v11
	v_mov_b32_e32 v23, 0
	v_lshlrev_b64 v[22:23], 2, v[22:23]
	v_mov_b32_e32 v5, s21
	v_add_co_u32_e32 v26, vcc, s20, v22
	v_addc_co_u32_e32 v27, vcc, v5, v23, vcc
	v_pk_mul_f32 v[20:21], v[0:1], v[20:21] op_sel_hi:[0,1]
	v_pk_mul_f32 v[22:23], v[0:1], v[24:25] op_sel_hi:[0,1]
	global_store_dwordx4 v[26:27], v[20:23], off
	s_and_saveexec_b64 s[4:5], s[2:3]
	s_cbranch_execz .LBB21_46
; %bb.45:
	v_ashrrev_i32_e32 v5, 31, v4
	v_lshlrev_b64 v[20:21], 3, v[4:5]
	v_mov_b32_e32 v0, s23
	v_add_co_u32_e32 v20, vcc, s22, v20
	v_addc_co_u32_e32 v21, vcc, v0, v21, vcc
	v_mov_b32_e32 v12, v1
	global_store_dwordx2 v[20:21], v[12:13], off
.LBB21_46:
	s_or_b64 exec, exec, s[4:5]
	s_and_b64 vcc, exec, s[0:1]
	v_mov_b32_e32 v10, 1.0
	s_cbranch_vccnz .LBB21_48
; %bb.47:
	v_div_scale_f32 v0, s[4:5], v8, v8, 1.0
	v_rcp_f32_e32 v1, v0
	v_div_scale_f32 v5, vcc, 1.0, v8, 1.0
	v_fma_f32 v7, -v0, v1, 1.0
	v_fmac_f32_e32 v1, v7, v1
	v_mul_f32_e32 v7, v5, v1
	v_fma_f32 v10, -v0, v7, v5
	v_fmac_f32_e32 v7, v10, v1
	v_fma_f32 v0, -v0, v7, v5
	v_div_fmas_f32 v0, v0, v1, v7
	v_div_fixup_f32 v10, v0, v8, 1.0
.LBB21_48:
	v_add_u32_e32 v0, s6, v4
	v_cvt_f32_f16_sdwa v13, v18 dst_sel:DWORD dst_unused:UNUSED_PAD src0_sel:WORD_1
	v_cvt_f32_f16_e32 v12, v18
	v_cvt_f32_f16_sdwa v7, v6 dst_sel:DWORD dst_unused:UNUSED_PAD src0_sel:WORD_1
	v_cvt_f32_f16_e32 v6, v6
	v_lshl_add_u32 v4, v0, 7, v11
	v_mov_b32_e32 v5, 0
	v_lshlrev_b64 v[4:5], 2, v[4:5]
	v_mov_b32_e32 v1, s21
	v_add_co_u32_e32 v18, vcc, s20, v4
	v_addc_co_u32_e32 v19, vcc, v1, v5, vcc
	v_pk_mul_f32 v[4:5], v[10:11], v[12:13] op_sel_hi:[0,1]
	v_pk_mul_f32 v[6:7], v[10:11], v[6:7] op_sel_hi:[0,1]
	global_store_dwordx4 v[18:19], v[4:7], off
	s_and_saveexec_b64 s[4:5], s[2:3]
	s_cbranch_execz .LBB21_50
; %bb.49:
	v_ashrrev_i32_e32 v1, 31, v0
	v_lshlrev_b64 v[4:5], 3, v[0:1]
	v_mov_b32_e32 v1, s23
	v_add_co_u32_e32 v4, vcc, s22, v4
	v_addc_co_u32_e32 v5, vcc, v1, v5, vcc
	v_mov_b32_e32 v6, v2
	v_mov_b32_e32 v7, v8
	global_store_dwordx2 v[4:5], v[6:7], off
.LBB21_50:
	s_or_b64 exec, exec, s[4:5]
	s_and_b64 vcc, exec, s[0:1]
	v_mov_b32_e32 v2, 1.0
	s_cbranch_vccnz .LBB21_52
; %bb.51:
	v_div_scale_f32 v1, s[0:1], v9, v9, 1.0
	v_rcp_f32_e32 v2, v1
	v_div_scale_f32 v4, vcc, 1.0, v9, 1.0
	v_fma_f32 v5, -v1, v2, 1.0
	v_fmac_f32_e32 v2, v5, v2
	v_mul_f32_e32 v5, v4, v2
	v_fma_f32 v6, -v1, v5, v4
	v_fmac_f32_e32 v5, v6, v2
	v_fma_f32 v1, -v1, v5, v4
	v_div_fmas_f32 v1, v1, v2, v5
	v_div_fixup_f32 v2, v1, v9, 1.0
.LBB21_52:
	v_add_u32_e32 v0, s6, v0
	v_lshl_add_u32 v4, v0, 7, v11
	v_cvt_f32_f16_sdwa v7, v17 dst_sel:DWORD dst_unused:UNUSED_PAD src0_sel:WORD_1
	v_cvt_f32_f16_e32 v6, v17
	v_cvt_f32_f16_sdwa v11, v15 dst_sel:DWORD dst_unused:UNUSED_PAD src0_sel:WORD_1
	v_cvt_f32_f16_e32 v10, v15
	v_mov_b32_e32 v5, 0
	v_lshlrev_b64 v[4:5], 2, v[4:5]
	v_mov_b32_e32 v1, s21
	v_add_co_u32_e32 v12, vcc, s20, v4
	v_addc_co_u32_e32 v13, vcc, v1, v5, vcc
	v_pk_mul_f32 v[4:5], v[2:3], v[6:7] op_sel_hi:[0,1]
	v_pk_mul_f32 v[6:7], v[2:3], v[10:11] op_sel_hi:[0,1]
	global_store_dwordx4 v[12:13], v[4:7], off
	s_and_b64 exec, exec, s[2:3]
	s_cbranch_execz .LBB21_54
; %bb.53:
	v_ashrrev_i32_e32 v1, 31, v0
	v_lshlrev_b64 v[0:1], 3, v[0:1]
	v_mov_b32_e32 v2, s23
	v_add_co_u32_e32 v0, vcc, s22, v0
	v_addc_co_u32_e32 v1, vcc, v2, v1, vcc
	v_mov_b32_e32 v8, v3
	global_store_dwordx2 v[0:1], v[8:9], off
.LBB21_54:
	s_endpgm
	.section	.rodata,"a",@progbits
	.p2align	6, 0x0
	.amdhsa_kernel _ZL15flash_attn_tileILi192ELi128ELi4ELi8ELb1EEvPKcS1_S1_S1_S1_PKiPfP15HIP_vector_typeIfLj2EEffffjfiS5_IjLj3EEiiiiiiiiiiiliiliiiiil
		.amdhsa_group_segment_fixed_size 18944
		.amdhsa_private_segment_fixed_size 0
		.amdhsa_kernarg_size 464
		.amdhsa_user_sgpr_count 6
		.amdhsa_user_sgpr_private_segment_buffer 1
		.amdhsa_user_sgpr_dispatch_ptr 0
		.amdhsa_user_sgpr_queue_ptr 0
		.amdhsa_user_sgpr_kernarg_segment_ptr 1
		.amdhsa_user_sgpr_dispatch_id 0
		.amdhsa_user_sgpr_flat_scratch_init 0
		.amdhsa_user_sgpr_kernarg_preload_length 0
		.amdhsa_user_sgpr_kernarg_preload_offset 0
		.amdhsa_user_sgpr_private_segment_size 0
		.amdhsa_uses_dynamic_stack 0
		.amdhsa_system_sgpr_private_segment_wavefront_offset 0
		.amdhsa_system_sgpr_workgroup_id_x 1
		.amdhsa_system_sgpr_workgroup_id_y 1
		.amdhsa_system_sgpr_workgroup_id_z 1
		.amdhsa_system_sgpr_workgroup_info 0
		.amdhsa_system_vgpr_workitem_id 1
		.amdhsa_next_free_vgpr 91
		.amdhsa_next_free_sgpr 39
		.amdhsa_accum_offset 92
		.amdhsa_reserve_vcc 1
		.amdhsa_reserve_flat_scratch 0
		.amdhsa_float_round_mode_32 0
		.amdhsa_float_round_mode_16_64 0
		.amdhsa_float_denorm_mode_32 3
		.amdhsa_float_denorm_mode_16_64 3
		.amdhsa_dx10_clamp 1
		.amdhsa_ieee_mode 1
		.amdhsa_fp16_overflow 0
		.amdhsa_tg_split 0
		.amdhsa_exception_fp_ieee_invalid_op 0
		.amdhsa_exception_fp_denorm_src 0
		.amdhsa_exception_fp_ieee_div_zero 0
		.amdhsa_exception_fp_ieee_overflow 0
		.amdhsa_exception_fp_ieee_underflow 0
		.amdhsa_exception_fp_ieee_inexact 0
		.amdhsa_exception_int_div_zero 0
	.end_amdhsa_kernel
	.section	.text._ZL15flash_attn_tileILi192ELi128ELi4ELi8ELb1EEvPKcS1_S1_S1_S1_PKiPfP15HIP_vector_typeIfLj2EEffffjfiS5_IjLj3EEiiiiiiiiiiiliiliiiiil,"axG",@progbits,_ZL15flash_attn_tileILi192ELi128ELi4ELi8ELb1EEvPKcS1_S1_S1_S1_PKiPfP15HIP_vector_typeIfLj2EEffffjfiS5_IjLj3EEiiiiiiiiiiiliiliiiiil,comdat
.Lfunc_end21:
	.size	_ZL15flash_attn_tileILi192ELi128ELi4ELi8ELb1EEvPKcS1_S1_S1_S1_PKiPfP15HIP_vector_typeIfLj2EEffffjfiS5_IjLj3EEiiiiiiiiiiiliiliiiiil, .Lfunc_end21-_ZL15flash_attn_tileILi192ELi128ELi4ELi8ELb1EEvPKcS1_S1_S1_S1_PKiPfP15HIP_vector_typeIfLj2EEffffjfiS5_IjLj3EEiiiiiiiiiiiliiliiiiil
                                        ; -- End function
	.section	.AMDGPU.csdata,"",@progbits
; Kernel info:
; codeLenInByte = 13664
; NumSgprs: 43
; NumVgprs: 91
; NumAgprs: 0
; TotalNumVgprs: 91
; ScratchSize: 0
; MemoryBound: 0
; FloatMode: 240
; IeeeMode: 1
; LDSByteSize: 18944 bytes/workgroup (compile time only)
; SGPRBlocks: 5
; VGPRBlocks: 11
; NumSGPRsForWavesPerEU: 43
; NumVGPRsForWavesPerEU: 91
; AccumOffset: 92
; Occupancy: 3
; WaveLimiterHint : 1
; COMPUTE_PGM_RSRC2:SCRATCH_EN: 0
; COMPUTE_PGM_RSRC2:USER_SGPR: 6
; COMPUTE_PGM_RSRC2:TRAP_HANDLER: 0
; COMPUTE_PGM_RSRC2:TGID_X_EN: 1
; COMPUTE_PGM_RSRC2:TGID_Y_EN: 1
; COMPUTE_PGM_RSRC2:TGID_Z_EN: 1
; COMPUTE_PGM_RSRC2:TIDIG_COMP_CNT: 1
; COMPUTE_PGM_RSRC3_GFX90A:ACCUM_OFFSET: 22
; COMPUTE_PGM_RSRC3_GFX90A:TG_SPLIT: 0
	.section	.text._ZL15flash_attn_tileILi192ELi128ELi2ELi8ELb1EEvPKcS1_S1_S1_S1_PKiPfP15HIP_vector_typeIfLj2EEffffjfiS5_IjLj3EEiiiiiiiiiiiliiliiiiil,"axG",@progbits,_ZL15flash_attn_tileILi192ELi128ELi2ELi8ELb1EEvPKcS1_S1_S1_S1_PKiPfP15HIP_vector_typeIfLj2EEffffjfiS5_IjLj3EEiiiiiiiiiiiliiliiiiil,comdat
	.globl	_ZL15flash_attn_tileILi192ELi128ELi2ELi8ELb1EEvPKcS1_S1_S1_S1_PKiPfP15HIP_vector_typeIfLj2EEffffjfiS5_IjLj3EEiiiiiiiiiiiliiliiiiil ; -- Begin function _ZL15flash_attn_tileILi192ELi128ELi2ELi8ELb1EEvPKcS1_S1_S1_S1_PKiPfP15HIP_vector_typeIfLj2EEffffjfiS5_IjLj3EEiiiiiiiiiiiliiliiiiil
	.p2align	8
	.type	_ZL15flash_attn_tileILi192ELi128ELi2ELi8ELb1EEvPKcS1_S1_S1_S1_PKiPfP15HIP_vector_typeIfLj2EEffffjfiS5_IjLj3EEiiiiiiiiiiiliiliiiiil,@function
_ZL15flash_attn_tileILi192ELi128ELi2ELi8ELb1EEvPKcS1_S1_S1_S1_PKiPfP15HIP_vector_typeIfLj2EEffffjfiS5_IjLj3EEiiiiiiiiiiiliiliiiiil: ; @_ZL15flash_attn_tileILi192ELi128ELi2ELi8ELb1EEvPKcS1_S1_S1_S1_PKiPfP15HIP_vector_typeIfLj2EEffffjfiS5_IjLj3EEiiiiiiiiiiiliiliiiiil
; %bb.0:
	s_load_dwordx4 s[0:3], s[4:5], 0x5c
	s_load_dwordx2 s[28:29], s[4:5], 0x80
	s_load_dwordx2 s[34:35], s[4:5], 0xb8
	s_mov_b64 s[30:31], 0
	s_waitcnt lgkmcnt(0)
	s_ashr_i32 s9, s3, 31
	s_lshr_b32 s9, s9, 29
	s_add_i32 s9, s3, s9
	s_ashr_i32 s9, s9, 3
	v_cvt_f32_u32_e32 v1, s9
	s_sub_i32 s10, 0, s9
	v_rcp_iflag_f32_e32 v1, v1
	v_mul_f32_e32 v1, 0x4f7ffffe, v1
	v_cvt_u32_f32_e32 v1, v1
	v_readfirstlane_b32 s11, v1
	s_mul_i32 s10, s10, s11
	s_mul_hi_u32 s10, s11, s10
	s_add_i32 s11, s11, s10
	s_mul_hi_u32 s10, s8, s11
	s_mul_i32 s11, s10, s9
	s_sub_i32 s11, s8, s11
	s_add_i32 s12, s10, 1
	s_sub_i32 s13, s11, s9
	s_cmp_ge_u32 s11, s9
	s_cselect_b32 s10, s12, s10
	s_cselect_b32 s11, s13, s11
	s_add_i32 s12, s10, 1
	s_cmp_ge_u32 s11, s9
	s_cselect_b32 s33, s12, s10
	s_abs_i32 s9, s29
	v_cvt_f32_u32_e32 v1, s9
	s_lshl_b32 s8, s8, 3
	s_mul_i32 s12, s33, s3
	s_xor_b32 s10, s3, s29
	v_rcp_iflag_f32_e32 v1, v1
	s_sub_i32 s13, 0, s9
	s_sub_i32 s29, s8, s12
	s_abs_i32 s11, s3
	v_mul_f32_e32 v1, 0x4f7ffffe, v1
	v_cvt_u32_f32_e32 v1, v1
	s_ashr_i32 s10, s10, 31
	v_readfirstlane_b32 s8, v1
	s_mul_i32 s13, s13, s8
	s_mul_hi_u32 s12, s8, s13
	s_add_i32 s8, s8, s12
	s_mul_hi_u32 s8, s11, s8
	s_mul_i32 s12, s8, s9
	s_sub_i32 s11, s11, s12
	s_add_i32 s13, s8, 1
	s_sub_i32 s12, s11, s9
	s_cmp_ge_u32 s11, s9
	s_cselect_b32 s8, s13, s8
	s_cselect_b32 s11, s12, s11
	s_add_i32 s12, s8, 1
	s_cmp_ge_u32 s11, s9
	s_cselect_b32 s8, s12, s8
	s_xor_b32 s8, s8, s10
	s_sub_i32 s37, s8, s10
	s_abs_i32 s36, s37
	v_cvt_f32_u32_e32 v1, s36
	s_load_dwordx16 s[8:23], s[4:5], 0x0
	v_rcp_iflag_f32_e32 v1, v1
	s_waitcnt lgkmcnt(0)
	s_cmp_eq_u64 s[14:15], 0
	v_mul_f32_e32 v1, 0x4f7ffffe, v1
	v_cvt_u32_f32_e32 v1, v1
	v_readfirstlane_b32 s38, v1
	s_cbranch_scc1 .LBB22_2
; %bb.1:
	s_abs_i32 s26, s34
	v_cvt_f32_u32_e32 v1, s26
	s_sub_i32 s31, 0, s26
	s_abs_i32 s30, s33
	s_ashr_i32 s27, s33, 31
	v_rcp_iflag_f32_e32 v1, v1
	s_load_dwordx2 s[24:25], s[4:5], 0xc8
	v_mul_f32_e32 v1, 0x4f7ffffe, v1
	v_cvt_u32_f32_e32 v1, v1
	v_readfirstlane_b32 s34, v1
	s_mul_i32 s31, s31, s34
	s_mul_hi_u32 s31, s34, s31
	s_add_i32 s34, s34, s31
	s_mul_hi_u32 s31, s30, s34
	s_mul_i32 s31, s31, s26
	s_sub_i32 s30, s30, s31
	s_sub_i32 s31, s30, s26
	s_cmp_ge_u32 s30, s26
	s_cselect_b32 s30, s31, s30
	s_sub_i32 s31, s30, s26
	s_cmp_ge_u32 s30, s26
	s_cselect_b32 s26, s31, s30
	s_xor_b32 s26, s26, s27
	s_sub_i32 s26, s26, s27
	s_ashr_i32 s27, s26, 31
	s_waitcnt lgkmcnt(0)
	s_mul_i32 s25, s26, s25
	s_mul_hi_u32 s30, s26, s24
	s_add_i32 s25, s30, s25
	s_mul_i32 s27, s27, s24
	s_add_i32 s25, s25, s27
	s_mul_i32 s26, s26, s24
	s_add_u32 s30, s14, s26
	s_addc_u32 s31, s15, s25
.LBB22_2:
	s_load_dwordx4 s[24:27], s[4:5], 0x70
	v_bfe_u32 v11, v0, 10, 10
	v_lshrrev_b32_e32 v1, 2, v11
	v_lshl_add_u32 v1, s6, 1, v1
	v_mul_hi_u32 v2, s0, v1
	s_waitcnt lgkmcnt(0)
	s_mul_i32 s14, s33, s26
	s_ashr_i32 s26, s14, 31
	s_mul_i32 s15, s29, s25
	s_add_u32 s8, s8, s14
	v_add_u32_e32 v2, v1, v2
	s_addc_u32 s9, s9, s26
	s_ashr_i32 s14, s15, 31
	v_lshrrev_b32_e32 v2, s1, v2
	s_add_u32 s8, s8, s15
	v_mul_lo_u32 v2, v2, s2
	s_addc_u32 s9, s9, s14
	v_sub_u32_e32 v8, v1, v2
	s_ashr_i32 s14, s24, 31
	v_mov_b32_e32 v2, s24
	v_alignbit_b32 v2, s14, v2, 2
	v_mad_u64_u32 v[2:3], s[0:1], v2, v8, 0
	v_mov_b32_e32 v4, v3
	s_lshr_b32 s0, s14, 2
	v_mad_u64_u32 v[4:5], s[0:1], s0, v8, v[4:5]
	v_mov_b32_e32 v3, v4
	v_lshlrev_b64 v[2:3], 2, v[2:3]
	v_and_b32_e32 v0, 0x3ff, v0
	v_mov_b32_e32 v4, s9
	v_add_co_u32_e32 v2, vcc, s8, v2
	v_addc_co_u32_e32 v3, vcc, v4, v3, vcc
	v_lshlrev_b32_e32 v4, 4, v0
	v_lshlrev_b32_e32 v10, 1, v11
	s_ashr_i32 s15, s25, 31
	v_add_co_u32_e32 v4, vcc, v2, v4
	v_mov_b32_e32 v2, s25
	v_and_b32_e32 v5, 6, v10
	v_alignbit_b32 v2, s15, v2, 2
	v_addc_co_u32_e32 v6, vcc, 0, v3, vcc
	v_mad_u64_u32 v[2:3], s[0:1], v2, v5, 0
	v_mov_b32_e32 v12, v3
	s_lshr_b32 s0, s15, 2
	v_mad_u64_u32 v[12:13], s[0:1], s0, v5, v[12:13]
	v_mov_b32_e32 v3, v12
	v_lshlrev_b64 v[2:3], 2, v[2:3]
	v_add_co_u32_e32 v2, vcc, v4, v2
	v_addc_co_u32_e32 v3, vcc, v6, v3, vcc
	global_load_dwordx4 v[12:15], v[2:3], off
	s_load_dword s8, s[4:5], 0x40
	v_lshlrev_b32_e32 v26, 1, v0
	v_mul_u32_u24_e32 v7, 0xc0, v11
	s_mov_b32 s14, s25
	v_add_lshl_u32 v7, v7, v26, 2
	s_waitcnt lgkmcnt(0)
	s_mov_b32 s9, s8
	s_lshr_b64 s[0:1], s[14:15], 2
	v_cmp_gt_u32_e32 vcc, 16, v0
	s_waitcnt vmcnt(0)
	v_pk_mul_f32 v[12:13], v[12:13], s[8:9] op_sel_hi:[1,0]
	v_pk_mul_f32 v[14:15], v[14:15], s[8:9] op_sel_hi:[1,0]
	v_cvt_f16_f32_e32 v9, v13
	v_cvt_f16_f32_e32 v13, v15
	;; [unrolled: 1-line block ×4, first 2 shown]
	v_pack_b32_f16 v13, v14, v13
	v_pack_b32_f16 v12, v12, v9
	ds_write_b64 v7, v[12:13]
	s_and_saveexec_b64 s[14:15], vcc
	s_cbranch_execz .LBB22_4
; %bb.3:
	global_load_dwordx4 v[12:15], v[2:3], off offset:512
	s_waitcnt vmcnt(0)
	v_pk_mul_f32 v[2:3], v[12:13], s[8:9]
	v_pk_mul_f32 v[12:13], v[14:15], s[8:9]
	v_cvt_f16_f32_e32 v3, v3
	v_cvt_f16_f32_e32 v2, v2
	;; [unrolled: 1-line block ×4, first 2 shown]
	v_pack_b32_f16 v2, v2, v3
	v_pack_b32_f16 v3, v12, v9
	ds_write_b64 v7, v[2:3] offset:256
.LBB22_4:
	s_or_b64 exec, exec, s[14:15]
	v_or_b32_e32 v9, 1, v10
	v_and_b32_e32 v7, 7, v9
	v_mad_u64_u32 v[2:3], s[14:15], s0, v7, 0
	v_mov_b32_e32 v12, v3
	v_mad_u64_u32 v[12:13], s[0:1], s1, v7, v[12:13]
	v_mov_b32_e32 v3, v12
	v_lshlrev_b64 v[2:3], 2, v[2:3]
	v_add_co_u32_e64 v2, s[0:1], v4, v2
	v_addc_co_u32_e64 v3, s[0:1], v6, v3, s[0:1]
	global_load_dwordx4 v[12:15], v[2:3], off
	v_mul_u32_u24_e32 v4, 0x60, v9
	v_add_lshl_u32 v4, v4, v26, 2
	s_waitcnt vmcnt(0)
	v_pk_mul_f32 v[6:7], v[12:13], s[8:9]
	v_pk_mul_f32 v[12:13], v[14:15], s[8:9]
	v_cvt_f16_f32_e32 v14, v7
	v_cvt_f16_f32_e32 v7, v13
	v_cvt_f16_f32_e32 v12, v12
	v_cvt_f16_f32_e32 v6, v6
	v_pack_b32_f16 v7, v12, v7
	v_pack_b32_f16 v6, v6, v14
	ds_write_b64 v4, v[6:7]
	s_and_saveexec_b64 s[0:1], vcc
	s_cbranch_execz .LBB22_6
; %bb.5:
	global_load_dwordx4 v[12:15], v[2:3], off offset:512
	s_waitcnt vmcnt(0)
	v_pk_mul_f32 v[2:3], v[12:13], s[8:9]
	v_pk_mul_f32 v[6:7], v[14:15], s[8:9]
	v_cvt_f16_f32_e32 v3, v3
	v_cvt_f16_f32_e32 v2, v2
	;; [unrolled: 1-line block ×4, first 2 shown]
	v_pack_b32_f16 v2, v2, v3
	v_pack_b32_f16 v3, v6, v7
	ds_write_b64 v4, v[2:3] offset:256
.LBB22_6:
	s_or_b64 exec, exec, s[0:1]
	s_cmp_eq_u64 s[18:19], 0
	s_waitcnt lgkmcnt(0)
	s_barrier
	s_cbranch_scc1 .LBB22_8
; %bb.7:
	s_load_dword s0, s[4:5], 0xd0
	s_mov_b32 s1, 0
	s_waitcnt lgkmcnt(0)
	s_mul_i32 s0, s0, s33
	s_add_i32 s0, s0, s6
	s_lshl_b64 s[0:1], s[0:1], 2
	s_add_u32 s0, s18, s0
	s_addc_u32 s1, s19, s1
	s_load_dword s28, s[0:1], 0x0
.LBB22_8:
	s_lshl_b32 s6, s7, 5
	s_waitcnt lgkmcnt(0)
	s_cmp_lt_i32 s6, s28
	v_mbcnt_lo_u32_b32 v31, -1, 0
	s_cbranch_scc1 .LBB22_10
; %bb.9:
	v_mbcnt_hi_u32_b32 v14, -1, v31
	v_and_b32_e32 v2, 0x60, v14
	s_mov_b32 s0, 0xfeffffff
	s_mov_b32 s14, 0
	v_add_u32_e32 v34, 32, v2
	v_xor_b32_e32 v35, 16, v14
	v_xor_b32_e32 v33, 8, v14
	;; [unrolled: 1-line block ×5, first 2 shown]
	s_mov_b32 s1, s0
	s_mov_b64 s[8:9], 0
	s_branch .LBB22_11
.LBB22_10:
	s_mov_b64 s[8:9], -1
                                        ; implicit-def: $sgpr14
                                        ; implicit-def: $sgpr0_sgpr1
                                        ; implicit-def: $vgpr14
                                        ; implicit-def: $vgpr34
                                        ; implicit-def: $vgpr35
                                        ; implicit-def: $vgpr33
                                        ; implicit-def: $vgpr36
                                        ; implicit-def: $vgpr37
                                        ; implicit-def: $vgpr38
.LBB22_11:
	v_lshlrev_b32_e32 v12, 2, v0
	s_andn2_b64 vcc, exec, s[8:9]
	v_mov_b32_e32 v7, s14
	v_mov_b32_e32 v13, s14
	v_pk_mov_b32 v[2:3], s[0:1], s[0:1] op_sel:[0,1]
	v_mov_b32_e32 v15, s14
	v_mov_b32_e32 v6, s14
	;; [unrolled: 1-line block ×4, first 2 shown]
	s_cbranch_vccnz .LBB22_22
; %bb.12:
	s_sub_i32 s0, 0, s36
	s_mul_i32 s0, s0, s38
	s_mul_hi_u32 s0, s38, s0
	s_add_i32 s38, s38, s0
	s_load_dwordx4 s[24:27], s[4:5], 0x98
	s_load_dword s14, s[4:5], 0x54
	s_load_dwordx2 s[0:1], s[4:5], 0x8c
	s_abs_i32 s19, s29
	s_mul_hi_u32 s34, s19, s38
	s_waitcnt lgkmcnt(0)
	s_ashr_i32 s15, s26, 2
	s_ashr_i32 s26, s35, 1
	;; [unrolled: 1-line block ×4, first 2 shown]
	s_mul_i32 s25, s33, s25
	s_mul_hi_u32 s35, s33, s24
	s_add_i32 s25, s35, s25
	s_mul_i32 s35, s0, s24
	s_ashr_i32 s38, s29, 31
	s_ashr_i32 s37, s37, 31
	s_add_i32 s25, s25, s35
	s_mul_i32 s24, s33, s24
	s_add_u32 s10, s10, s24
	s_addc_u32 s11, s11, s25
	s_mul_i32 s25, s34, s36
	s_sub_i32 s19, s19, s25
	s_xor_b32 s24, s38, s37
	s_add_i32 s25, s34, 1
	s_sub_i32 s35, s19, s36
	s_cmp_ge_u32 s19, s36
	s_cselect_b32 s25, s25, s34
	s_cselect_b32 s19, s35, s19
	s_add_i32 s34, s25, 1
	s_cmp_ge_u32 s19, s36
	s_cselect_b32 s19, s34, s25
	s_load_dwordx2 s[8:9], s[4:5], 0xa8
	s_xor_b32 s19, s19, s24
	s_sub_i32 s19, s19, s24
	s_mul_i32 s1, s19, s1
	s_ashr_i32 s24, s1, 31
	s_add_u32 s1, s10, s1
	s_addc_u32 s10, s11, s24
	s_waitcnt lgkmcnt(0)
	s_mul_i32 s9, s33, s9
	s_mul_hi_u32 s11, s33, s8
	s_add_i32 s9, s11, s9
	s_mul_i32 s0, s0, s8
	s_add_i32 s9, s9, s0
	s_mul_i32 s0, s33, s8
	v_lshrrev_b32_e32 v2, 3, v0
	s_add_u32 s0, s12, s0
	s_mul_i32 s19, s19, s27
	v_lshl_add_u32 v2, v11, 2, v2
	s_addc_u32 s8, s13, s9
	s_ashr_i32 s9, s19, 31
	v_and_b32_e32 v3, 28, v12
	v_mul_u32_u24_e32 v4, 0x90, v2
	v_mul_lo_u32 v2, s18, v2
	s_add_u32 s11, s0, s19
	v_lshlrev_b32_e32 v6, 2, v3
	v_ashrrev_i32_e32 v3, 31, v2
	s_addc_u32 s8, s8, s9
	s_movk_i32 s9, 0x1800
	v_lshlrev_b64 v[2:3], 2, v[2:3]
	v_add3_u32 v16, v4, v6, s9
	v_mov_b32_e32 v4, s10
	v_add_co_u32_e32 v2, vcc, s1, v2
	v_addc_co_u32_e32 v3, vcc, v4, v3, vcc
	v_add_co_u32_e32 v17, vcc, v2, v6
	v_mov_b32_e32 v2, 0x2a00
	v_addc_co_u32_e32 v18, vcc, 0, v3, vcc
	v_lshl_add_u32 v21, v11, 7, v2
	v_lshrrev_b32_e32 v2, 4, v0
	v_and_b32_e32 v3, 60, v12
	v_add_u32_e32 v2, v10, v2
	v_lshlrev_b32_e32 v6, 2, v3
	v_lshl_or_b32 v3, v2, 8, v6
	v_mul_lo_u32 v2, s15, v2
	v_add_u32_e32 v23, 0x1800, v3
	v_ashrrev_i32_e32 v3, 31, v2
	v_lshlrev_b64 v[2:3], 2, v[2:3]
	s_movk_i32 s0, 0x90
	v_mov_b32_e32 v4, 0x1800
	v_mov_b32_e32 v7, s8
	v_add_co_u32_e32 v2, vcc, s11, v2
	v_mad_u32_u24 v19, v0, s0, v4
	v_mad_u64_u32 v[8:9], s[0:1], v8, s26, v[0:1]
	v_addc_co_u32_e32 v3, vcc, v7, v3, vcc
	v_add_co_u32_e32 v24, vcc, v2, v6
	s_add_u32 s0, s4, 0xd0
	v_mov_b32_e32 v2, 0xfeffffff
	v_mov_b32_e32 v6, 0
	v_mul_u32_u24_e32 v20, 0x300, v11
	v_lshl_add_u32 v22, v26, 1, v21
	v_addc_co_u32_e32 v25, vcc, 0, v3, vcc
	v_lshl_add_u32 v26, v26, 2, v4
	s_addc_u32 s1, s5, 0
	v_mov_b32_e32 v9, 0
	v_mov_b32_e32 v4, 0
	;; [unrolled: 1-line block ×3, first 2 shown]
	s_mov_b32 s10, 0x3f200000
	s_mov_b32 s11, 0x3fb8aa3b
	s_mov_b32 s12, 0xc2ce8ed0
	s_mov_b32 s13, 0x42b17218
	v_mov_b32_e32 v28, 0xbd5c1c4e
	v_mov_b32_e32 v29, 0x3e088382
	v_mov_b32_e32 v30, 0xbeaaaa99
	v_mbcnt_hi_u32_b32 v14, -1, v31
	s_brev_b32 s19, -2
	v_mov_b32_e32 v31, 0x7f800000
	v_mov_b32_e32 v15, 0
	v_mov_b32_e32 v13, 0
	v_mov_b32_e32 v3, v2
	v_mov_b32_e32 v7, v6
	s_branch .LBB22_14
.LBB22_13:                              ;   in Loop: Header=BB22_14 Depth=1
	s_or_b64 exec, exec, s[8:9]
	v_cvt_f32_f16_e32 v11, v11
	v_bfi_b32 v32, s19, v46, v32
	v_max_f32_e32 v46, v3, v3
	s_mul_hi_i32 s9, s6, s15
	v_fmac_f32_e32 v11, s14, v32
	v_add_f32_e32 v32, 0x40051340, v11
	v_max_f32_e32 v32, v46, v32
	ds_bpermute_b32 v45, v45, v32
	s_mul_i32 s8, s6, s15
	s_lshl_b64 s[8:9], s[8:9], 2
	v_add_co_u32_e32 v46, vcc, s8, v24
	s_waitcnt lgkmcnt(0)
	v_max_f32_e32 v45, v45, v45
	v_max_f32_e32 v32, v32, v45
	v_mov_b32_e32 v45, s9
	v_addc_co_u32_e32 v47, vcc, v25, v45, vcc
	s_barrier
	global_load_dwordx4 v[46:49], v[46:47], off
	ds_bpermute_b32 v39, v39, v32
	s_or_b32 s8, s6, 16
	s_mul_hi_i32 s9, s8, s15
	s_mul_i32 s8, s8, s15
	s_lshl_b64 s[8:9], s[8:9], 2
	s_waitcnt lgkmcnt(0)
	v_max_f32_e32 v39, v39, v39
	v_max_f32_e32 v32, v32, v39
	ds_bpermute_b32 v39, v40, v32
	v_mov_b32_e32 v40, v2
	v_mov_b32_e32 v89, s9
	s_waitcnt lgkmcnt(0)
	v_max_f32_e32 v39, v39, v39
	v_max_f32_e32 v32, v32, v39
	ds_bpermute_b32 v39, v41, v32
	v_mov_b32_e32 v41, v3
	v_max_f32_e32 v3, v42, v42
	s_waitcnt lgkmcnt(0)
	v_max_f32_e32 v2, v39, v39
	v_max_f32_e32 v32, v32, v2
	ds_bpermute_b32 v39, v43, v32
	v_max_f32_e32 v2, v44, v44
	v_max_f32_e32 v2, v3, v2
	s_waitcnt lgkmcnt(0)
	v_max_f32_e32 v3, v39, v39
	v_max_f32_e32 v3, v32, v3
	v_pk_add_f32 v[10:11], v[10:11], v[2:3] neg_lo:[0,1] neg_hi:[0,1]
	v_mul_f32_e32 v32, 0x3fb8aa3b, v11
	v_fma_f32 v42, v11, s11, -v32
	v_rndne_f32_e32 v43, v32
	v_mul_f32_e32 v39, 0x3fb8aa3b, v10
	v_fmac_f32_e32 v42, 0x32a5705f, v11
	v_sub_f32_e32 v32, v32, v43
	v_add_f32_e32 v32, v32, v42
	v_fma_f32 v42, v10, s11, -v39
	v_rndne_f32_e32 v44, v39
	v_cvt_i32_f32_e32 v43, v43
	v_exp_f32_e32 v32, v32
	v_fmac_f32_e32 v42, 0x32a5705f, v10
	v_sub_f32_e32 v39, v39, v44
	v_add_f32_e32 v39, v39, v42
	v_exp_f32_e32 v39, v39
	v_cvt_i32_f32_e32 v42, v44
	v_ldexp_f32 v32, v32, v43
	v_cmp_ngt_f32_e32 vcc, s12, v11
	v_pk_add_f32 v[92:93], v[40:41], v[2:3] neg_lo:[0,1] neg_hi:[0,1]
	v_cndmask_b32_e32 v32, 0, v32, vcc
	v_cmp_nlt_f32_e32 vcc, s13, v11
	v_mul_f32_e32 v40, 0x3fb8aa3b, v93
	v_cndmask_b32_e32 v11, v31, v32, vcc
	v_ldexp_f32 v32, v39, v42
	v_cmp_ngt_f32_e32 vcc, s12, v10
	v_fma_f32 v41, v93, s11, -v40
	v_rndne_f32_e32 v42, v40
	v_cndmask_b32_e32 v32, 0, v32, vcc
	v_cmp_nlt_f32_e32 vcc, s13, v10
	v_fmac_f32_e32 v41, 0x32a5705f, v93
	v_sub_f32_e32 v40, v40, v42
	v_cndmask_b32_e32 v10, v31, v32, vcc
	v_add_f32_e32 v40, v40, v41
	v_cvt_f16_f32_e32 v32, v11
	v_cvt_f16_f32_e32 v39, v10
	v_exp_f32_e32 v40, v40
	v_cvt_i32_f32_e32 v41, v42
	v_add_co_u32_e32 v88, vcc, s8, v24
	v_pack_b32_f16 v32, v39, v32
	v_ldexp_f32 v39, v40, v41
	v_mul_f32_e32 v40, 0x3fb8aa3b, v92
	v_fma_f32 v41, v92, s11, -v40
	v_rndne_f32_e32 v42, v40
	v_fmac_f32_e32 v41, 0x32a5705f, v92
	v_sub_f32_e32 v40, v40, v42
	v_add_f32_e32 v40, v40, v41
	ds_write_b32 v22, v32
	s_waitcnt vmcnt(0)
	ds_write_b128 v23, v[46:49]
	v_add_u32_e32 v32, 0x800, v26
	v_addc_co_u32_e32 v89, vcc, v25, v89, vcc
	v_exp_f32_e32 v94, v40
	v_cvt_i32_f32_e32 v95, v42
	s_waitcnt lgkmcnt(0)
	s_barrier
	ds_read2_b64 v[40:43], v26 offset1:32
	ds_read_b128 v[44:47], v21
	ds_read_b128 v[48:51], v21 offset:16
	ds_read_b128 v[52:55], v21 offset:32
	;; [unrolled: 1-line block ×3, first 2 shown]
	ds_read2_b64 v[60:63], v26 offset0:64 offset1:96
	ds_read2_b64 v[64:67], v26 offset0:128 offset1:160
	;; [unrolled: 1-line block ×3, first 2 shown]
	ds_read2_b64 v[72:75], v32 offset1:32
	ds_read2_b64 v[76:79], v32 offset0:64 offset1:96
	ds_read2_b64 v[80:83], v32 offset0:128 offset1:160
	;; [unrolled: 1-line block ×3, first 2 shown]
	s_waitcnt lgkmcnt(0)
	s_barrier
	global_load_dwordx4 v[88:91], v[88:89], off
	v_cmp_ngt_f32_e32 vcc, s12, v93
	v_cndmask_b32_e32 v39, 0, v39, vcc
	v_cmp_nlt_f32_e32 vcc, s13, v93
	v_cndmask_b32_e32 v93, v31, v39, vcc
	v_ldexp_f32 v39, v94, v95
	v_cmp_ngt_f32_e32 vcc, s12, v92
	v_cndmask_b32_e32 v39, 0, v39, vcc
	v_cmp_nlt_f32_e32 vcc, s13, v92
	v_cvt_f16_f32_e32 v94, v93
	v_cndmask_b32_e32 v92, v31, v39, vcc
	v_cvt_f16_f32_e32 v39, v92
	v_pk_fma_f32 v[6:7], v[6:7], v[92:93], v[10:11]
	v_pk_mul_f16 v11, v40, v44 op_sel:[0,1]
	v_pk_mul_f16 v9, v94, v9 op_sel_hi:[0,1]
	v_pk_mul_f16 v10, v40, v44 op_sel_hi:[1,0]
	v_pk_fma_f16 v11, v94, v13, v11 op_sel_hi:[0,1,1]
	v_pk_mul_f16 v13, v41, v44 op_sel_hi:[1,0]
	v_pk_fma_f16 v10, v39, v15, v10 op_sel_hi:[0,1,1]
	v_pk_fma_f16 v4, v39, v4, v13 op_sel_hi:[0,1,1]
	v_pk_fma_f16 v9, v41, v44, v9 op_sel:[0,1,0]
	v_pk_fma_f16 v10, v42, v45, v10 op_sel_hi:[1,0,1]
	v_pk_fma_f16 v11, v42, v45, v11 op_sel:[0,1,0]
	;; [unrolled: 2-line block ×30, first 2 shown]
	v_pk_fma_f16 v4, v87, v59, v4 op_sel_hi:[1,0,1]
	s_waitcnt vmcnt(0)
	ds_write_b128 v23, v[88:91]
	s_waitcnt lgkmcnt(0)
	s_barrier
	ds_read2_b64 v[40:43], v26 offset1:32
	ds_read_b128 v[44:47], v21 offset:64
	v_pk_fma_f16 v9, v87, v59, v9 op_sel:[0,1,0]
	ds_read_b128 v[48:51], v21 offset:80
	ds_read_b128 v[52:55], v21 offset:96
	;; [unrolled: 1-line block ×3, first 2 shown]
	ds_read2_b64 v[60:63], v26 offset0:64 offset1:96
	s_waitcnt lgkmcnt(4)
	v_pk_fma_f16 v10, v40, v44, v10 op_sel_hi:[1,0,1]
	v_pk_fma_f16 v11, v40, v44, v11 op_sel:[0,1,0]
	v_pk_fma_f16 v4, v41, v44, v4 op_sel_hi:[1,0,1]
	v_pk_fma_f16 v9, v41, v44, v9 op_sel:[0,1,0]
	v_pk_fma_f16 v10, v42, v45, v10 op_sel_hi:[1,0,1]
	v_pk_fma_f16 v11, v42, v45, v11 op_sel:[0,1,0]
	v_pk_fma_f16 v4, v43, v45, v4 op_sel_hi:[1,0,1]
	v_pk_fma_f16 v9, v43, v45, v9 op_sel:[0,1,0]
	ds_read2_b64 v[40:43], v26 offset0:128 offset1:160
	s_waitcnt lgkmcnt(1)
	v_pk_fma_f16 v10, v60, v46, v10 op_sel_hi:[1,0,1]
	v_pk_fma_f16 v11, v60, v46, v11 op_sel:[0,1,0]
	v_pk_fma_f16 v4, v61, v46, v4 op_sel_hi:[1,0,1]
	v_pk_fma_f16 v9, v61, v46, v9 op_sel:[0,1,0]
	v_pk_fma_f16 v10, v62, v47, v10 op_sel_hi:[1,0,1]
	v_pk_fma_f16 v11, v62, v47, v11 op_sel:[0,1,0]
	v_pk_fma_f16 v4, v63, v47, v4 op_sel_hi:[1,0,1]
	v_pk_fma_f16 v9, v63, v47, v9 op_sel:[0,1,0]
	;; [unrolled: 10-line block ×3, first 2 shown]
	ds_read2_b64 v[40:43], v32 offset1:32
	s_waitcnt lgkmcnt(1)
	v_pk_fma_f16 v10, v44, v50, v10 op_sel_hi:[1,0,1]
	v_pk_fma_f16 v11, v44, v50, v11 op_sel:[0,1,0]
	v_pk_fma_f16 v4, v45, v50, v4 op_sel_hi:[1,0,1]
	v_pk_fma_f16 v9, v45, v50, v9 op_sel:[0,1,0]
	;; [unrolled: 2-line block ×4, first 2 shown]
	ds_read2_b64 v[44:47], v32 offset0:64 offset1:96
	s_waitcnt lgkmcnt(1)
	v_pk_fma_f16 v10, v40, v52, v10 op_sel_hi:[1,0,1]
	v_pk_fma_f16 v11, v40, v52, v11 op_sel:[0,1,0]
	v_pk_fma_f16 v4, v41, v52, v4 op_sel_hi:[1,0,1]
	v_pk_fma_f16 v9, v41, v52, v9 op_sel:[0,1,0]
	;; [unrolled: 2-line block ×4, first 2 shown]
	s_waitcnt lgkmcnt(0)
	v_pk_fma_f16 v10, v44, v54, v10 op_sel_hi:[1,0,1]
	v_pk_fma_f16 v11, v44, v54, v11 op_sel:[0,1,0]
	v_pk_fma_f16 v4, v45, v54, v4 op_sel_hi:[1,0,1]
	v_pk_fma_f16 v9, v45, v54, v9 op_sel:[0,1,0]
	ds_read2_b64 v[40:43], v32 offset0:128 offset1:160
	v_pk_fma_f16 v10, v46, v55, v10 op_sel_hi:[1,0,1]
	v_pk_fma_f16 v11, v46, v55, v11 op_sel:[0,1,0]
	v_pk_fma_f16 v4, v47, v55, v4 op_sel_hi:[1,0,1]
	v_pk_fma_f16 v9, v47, v55, v9 op_sel:[0,1,0]
	ds_read2_b64 v[44:47], v32 offset0:192 offset1:224
	s_waitcnt lgkmcnt(0)
	s_barrier
	s_load_dword s8, s[0:1], 0x4
	v_pk_fma_f16 v10, v40, v56, v10 op_sel_hi:[1,0,1]
	v_pk_fma_f16 v11, v40, v56, v11 op_sel:[0,1,0]
	v_pk_fma_f16 v4, v41, v56, v4 op_sel_hi:[1,0,1]
	v_pk_fma_f16 v9, v41, v56, v9 op_sel:[0,1,0]
	;; [unrolled: 2-line block ×4, first 2 shown]
	s_waitcnt lgkmcnt(0)
	s_lshl_b32 s8, s8, 5
	v_pk_fma_f16 v10, v44, v58, v10 op_sel_hi:[1,0,1]
	v_pk_fma_f16 v11, v44, v58, v11 op_sel:[0,1,0]
	v_pk_fma_f16 v4, v45, v58, v4 op_sel_hi:[1,0,1]
	v_pk_fma_f16 v9, v45, v58, v9 op_sel:[0,1,0]
	s_add_i32 s6, s8, s6
	v_pk_fma_f16 v15, v46, v59, v10 op_sel_hi:[1,0,1]
	v_pk_fma_f16 v13, v46, v59, v11 op_sel:[0,1,0]
	v_pk_fma_f16 v4, v47, v59, v4 op_sel_hi:[1,0,1]
	s_cmp_ge_i32 s6, s28
	v_pk_fma_f16 v9, v47, v59, v9 op_sel:[0,1,0]
	s_cbranch_scc1 .LBB22_22
.LBB22_14:                              ; =>This Inner Loop Header: Depth=1
	s_mul_hi_i32 s9, s6, s18
	s_mul_i32 s8, s6, s18
	s_lshl_b64 s[8:9], s[8:9], 2
	v_mov_b32_e32 v11, s9
	v_add_co_u32_e32 v10, vcc, s8, v17
	v_addc_co_u32_e32 v11, vcc, v18, v11, vcc
	global_load_dwordx4 v[32:35], v[10:11], off
	s_waitcnt vmcnt(0)
	ds_write_b128 v16, v[32:35]
	s_waitcnt lgkmcnt(0)
	s_barrier
	ds_read_b128 v[34:37], v19
	ds_read_b128 v[38:41], v20
	v_mov_b32_e32 v33, 0
	ds_read_b128 v[42:45], v20 offset:384
	s_waitcnt lgkmcnt(1)
	;;#ASMSTART
	v_dot2_f32_f16 v33, v34, v38, v33
	;;#ASMEND
	;;#ASMSTART
	v_dot2_f32_f16 v33, v35, v39, v33
	;;#ASMEND
	v_mov_b32_e32 v32, 0
	;;#ASMSTART
	v_dot2_f32_f16 v33, v36, v40, v33
	;;#ASMEND
	;;#ASMSTART
	v_dot2_f32_f16 v33, v37, v41, v33
	;;#ASMEND
	s_waitcnt lgkmcnt(0)
	;;#ASMSTART
	v_dot2_f32_f16 v32, v34, v42, v32
	;;#ASMEND
	;;#ASMSTART
	v_dot2_f32_f16 v32, v35, v43, v32
	;;#ASMEND
	;;#ASMSTART
	v_dot2_f32_f16 v32, v36, v44, v32
	;;#ASMEND
	;;#ASMSTART
	v_dot2_f32_f16 v32, v37, v45, v32
	;;#ASMEND
	ds_read_b128 v[34:37], v19 offset:16
	ds_read_b128 v[38:41], v20 offset:16
	ds_read_b128 v[42:45], v20 offset:400
	s_waitcnt lgkmcnt(1)
	;;#ASMSTART
	v_dot2_f32_f16 v33, v34, v38, v33
	;;#ASMEND
	;;#ASMSTART
	v_dot2_f32_f16 v33, v35, v39, v33
	;;#ASMEND
	;;#ASMSTART
	v_dot2_f32_f16 v33, v36, v40, v33
	;;#ASMEND
	;;#ASMSTART
	v_dot2_f32_f16 v33, v37, v41, v33
	;;#ASMEND
	s_waitcnt lgkmcnt(0)
	;;#ASMSTART
	v_dot2_f32_f16 v32, v34, v42, v32
	;;#ASMEND
	;;#ASMSTART
	v_dot2_f32_f16 v32, v35, v43, v32
	;;#ASMEND
	;;#ASMSTART
	v_dot2_f32_f16 v32, v36, v44, v32
	;;#ASMEND
	;;#ASMSTART
	v_dot2_f32_f16 v32, v37, v45, v32
	;;#ASMEND
	ds_read_b128 v[34:37], v19 offset:32
	ds_read_b128 v[38:41], v20 offset:32
	ds_read_b128 v[42:45], v20 offset:416
	s_waitcnt lgkmcnt(1)
	;;#ASMSTART
	v_dot2_f32_f16 v33, v34, v38, v33
	;;#ASMEND
	;;#ASMSTART
	v_dot2_f32_f16 v33, v35, v39, v33
	;;#ASMEND
	;; [unrolled: 29-line block ×7, first 2 shown]
	;;#ASMSTART
	v_dot2_f32_f16 v33, v36, v40, v33
	;;#ASMEND
	;;#ASMSTART
	v_dot2_f32_f16 v33, v37, v41, v33
	;;#ASMEND
	s_waitcnt lgkmcnt(0)
	;;#ASMSTART
	v_dot2_f32_f16 v32, v34, v42, v32
	;;#ASMEND
	;;#ASMSTART
	v_dot2_f32_f16 v32, v35, v43, v32
	;;#ASMEND
	;;#ASMSTART
	v_dot2_f32_f16 v32, v36, v44, v32
	;;#ASMEND
	;;#ASMSTART
	v_dot2_f32_f16 v32, v37, v45, v32
	;;#ASMEND
	s_barrier
	global_load_dwordx4 v[34:37], v[10:11], off offset:128
	s_waitcnt vmcnt(0)
	ds_write_b128 v16, v[34:37]
	s_waitcnt lgkmcnt(0)
	s_barrier
	ds_read_b128 v[34:37], v19
	ds_read_b128 v[38:41], v20 offset:128
	ds_read_b128 v[42:45], v20 offset:512
	s_waitcnt lgkmcnt(1)
	;;#ASMSTART
	v_dot2_f32_f16 v33, v34, v38, v33
	;;#ASMEND
	;;#ASMSTART
	v_dot2_f32_f16 v33, v35, v39, v33
	;;#ASMEND
	;;#ASMSTART
	v_dot2_f32_f16 v33, v36, v40, v33
	;;#ASMEND
	;;#ASMSTART
	v_dot2_f32_f16 v33, v37, v41, v33
	;;#ASMEND
	s_waitcnt lgkmcnt(0)
	;;#ASMSTART
	v_dot2_f32_f16 v32, v34, v42, v32
	;;#ASMEND
	;;#ASMSTART
	v_dot2_f32_f16 v32, v35, v43, v32
	;;#ASMEND
	;;#ASMSTART
	v_dot2_f32_f16 v32, v36, v44, v32
	;;#ASMEND
	;;#ASMSTART
	v_dot2_f32_f16 v32, v37, v45, v32
	;;#ASMEND
	ds_read_b128 v[34:37], v19 offset:16
	ds_read_b128 v[38:41], v20 offset:144
	ds_read_b128 v[42:45], v20 offset:528
	s_waitcnt lgkmcnt(1)
	;;#ASMSTART
	v_dot2_f32_f16 v33, v34, v38, v33
	;;#ASMEND
	;;#ASMSTART
	v_dot2_f32_f16 v33, v35, v39, v33
	;;#ASMEND
	;;#ASMSTART
	v_dot2_f32_f16 v33, v36, v40, v33
	;;#ASMEND
	;;#ASMSTART
	v_dot2_f32_f16 v33, v37, v41, v33
	;;#ASMEND
	s_waitcnt lgkmcnt(0)
	;;#ASMSTART
	v_dot2_f32_f16 v32, v34, v42, v32
	;;#ASMEND
	;;#ASMSTART
	v_dot2_f32_f16 v32, v35, v43, v32
	;;#ASMEND
	;;#ASMSTART
	v_dot2_f32_f16 v32, v36, v44, v32
	;;#ASMEND
	;;#ASMSTART
	v_dot2_f32_f16 v32, v37, v45, v32
	;;#ASMEND
	ds_read_b128 v[34:37], v19 offset:32
	;; [unrolled: 29-line block ×7, first 2 shown]
	ds_read_b128 v[38:41], v20 offset:240
	ds_read_b128 v[42:45], v20 offset:624
	s_waitcnt lgkmcnt(1)
	;;#ASMSTART
	v_dot2_f32_f16 v33, v34, v38, v33
	;;#ASMEND
	;;#ASMSTART
	v_dot2_f32_f16 v33, v35, v39, v33
	;;#ASMEND
	;; [unrolled: 3-line block ×4, first 2 shown]
	s_waitcnt lgkmcnt(0)
	;;#ASMSTART
	v_dot2_f32_f16 v32, v34, v42, v32
	;;#ASMEND
	;;#ASMSTART
	v_dot2_f32_f16 v32, v35, v43, v32
	;;#ASMEND
	;; [unrolled: 3-line block ×4, first 2 shown]
	s_barrier
	global_load_dwordx4 v[34:37], v[10:11], off offset:256
	v_add_u32_e32 v10, s6, v8
	v_ashrrev_i32_e32 v11, 31, v10
	v_lshlrev_b64 v[10:11], 1, v[10:11]
	v_add_co_u32_e32 v10, vcc, s30, v10
	v_addc_co_u32_e32 v11, vcc, v27, v11, vcc
	s_waitcnt vmcnt(0)
	ds_write_b128 v16, v[34:37]
	s_waitcnt lgkmcnt(0)
	s_barrier
	ds_read_b128 v[34:37], v19
	ds_read_b128 v[38:41], v20 offset:256
	ds_read_b128 v[42:45], v20 offset:640
	s_waitcnt lgkmcnt(1)
	;;#ASMSTART
	v_dot2_f32_f16 v33, v34, v38, v33
	;;#ASMEND
	;;#ASMSTART
	v_dot2_f32_f16 v33, v35, v39, v33
	;;#ASMEND
	;;#ASMSTART
	v_dot2_f32_f16 v33, v36, v40, v33
	;;#ASMEND
	;;#ASMSTART
	v_dot2_f32_f16 v33, v37, v41, v33
	;;#ASMEND
	s_waitcnt lgkmcnt(0)
	;;#ASMSTART
	v_dot2_f32_f16 v32, v34, v42, v32
	;;#ASMEND
	;;#ASMSTART
	v_dot2_f32_f16 v32, v35, v43, v32
	;;#ASMEND
	;;#ASMSTART
	v_dot2_f32_f16 v32, v36, v44, v32
	;;#ASMEND
	;;#ASMSTART
	v_dot2_f32_f16 v32, v37, v45, v32
	;;#ASMEND
	ds_read_b128 v[34:37], v19 offset:16
	ds_read_b128 v[38:41], v20 offset:272
	ds_read_b128 v[42:45], v20 offset:656
	s_waitcnt lgkmcnt(1)
	;;#ASMSTART
	v_dot2_f32_f16 v33, v34, v38, v33
	;;#ASMEND
	;;#ASMSTART
	v_dot2_f32_f16 v33, v35, v39, v33
	;;#ASMEND
	;;#ASMSTART
	v_dot2_f32_f16 v33, v36, v40, v33
	;;#ASMEND
	;;#ASMSTART
	v_dot2_f32_f16 v33, v37, v41, v33
	;;#ASMEND
	s_waitcnt lgkmcnt(0)
	;;#ASMSTART
	v_dot2_f32_f16 v32, v34, v42, v32
	;;#ASMEND
	;;#ASMSTART
	v_dot2_f32_f16 v32, v35, v43, v32
	;;#ASMEND
	;;#ASMSTART
	v_dot2_f32_f16 v32, v36, v44, v32
	;;#ASMEND
	;;#ASMSTART
	v_dot2_f32_f16 v32, v37, v45, v32
	;;#ASMEND
	ds_read_b128 v[34:37], v19 offset:32
	;; [unrolled: 29-line block ×7, first 2 shown]
	ds_read_b128 v[38:41], v20 offset:368
	ds_read_b128 v[42:45], v20 offset:752
	s_waitcnt lgkmcnt(1)
	;;#ASMSTART
	v_dot2_f32_f16 v33, v34, v38, v33
	;;#ASMEND
	;;#ASMSTART
	v_dot2_f32_f16 v33, v35, v39, v33
	;;#ASMEND
	;; [unrolled: 3-line block ×4, first 2 shown]
	s_waitcnt lgkmcnt(0)
	;;#ASMSTART
	v_dot2_f32_f16 v32, v34, v42, v32
	;;#ASMEND
	;;#ASMSTART
	v_dot2_f32_f16 v32, v35, v43, v32
	;;#ASMEND
	;; [unrolled: 3-line block ×4, first 2 shown]
	flat_load_ushort v11, v[10:11]
	v_cmp_nlt_f32_e64 s[8:9], |v33|, s10
                                        ; implicit-def: $vgpr10
	s_and_saveexec_b64 s[24:25], s[8:9]
	s_xor_b64 s[8:9], exec, s[24:25]
	s_cbranch_execz .LBB22_16
; %bb.15:                               ;   in Loop: Header=BB22_14 Depth=1
	v_add_f32_e64 v10, |v33|, |v33|
	v_mul_f32_e32 v34, 0x3fb8aa3b, v10
	v_rndne_f32_e32 v35, v34
	v_sub_f32_e32 v36, v34, v35
	v_fma_f32 v34, v10, s11, -v34
	v_fmac_f32_e32 v34, 0x32a5705f, v10
	v_add_f32_e32 v34, v36, v34
	v_cvt_i32_f32_e32 v35, v35
	v_exp_f32_e32 v34, v34
	v_cmp_ngt_f32_e32 vcc, s12, v10
	v_ldexp_f32 v34, v34, v35
	v_cndmask_b32_e32 v34, 0, v34, vcc
	v_cmp_nlt_f32_e32 vcc, s13, v10
	v_cndmask_b32_e32 v10, v31, v34, vcc
	v_add_f32_e32 v10, 1.0, v10
	v_rcp_f32_e32 v10, v10
	v_fma_f32 v10, v10, -2.0, 1.0
.LBB22_16:                              ;   in Loop: Header=BB22_14 Depth=1
	s_andn2_saveexec_b64 s[8:9], s[8:9]
; %bb.17:                               ;   in Loop: Header=BB22_14 Depth=1
	v_mul_f32_e32 v10, v33, v33
	v_mov_b32_e32 v34, 0x3ca908c9
	v_fmac_f32_e32 v34, 0xbbbac73d, v10
	v_fma_f32 v34, v10, v34, v28
	v_fma_f32 v34, v10, v34, v29
	;; [unrolled: 1-line block ×3, first 2 shown]
	v_mul_f32_e64 v34, |v33|, v34
	v_fma_f32 v10, v10, v34, |v33|
; %bb.18:                               ;   in Loop: Header=BB22_14 Depth=1
	s_or_b64 exec, exec, s[8:9]
	v_and_b32_e32 v34, 0x60, v14
	v_add_u32_e32 v34, 32, v34
	v_xor_b32_e32 v35, 16, v14
	v_cmp_lt_i32_e32 vcc, v35, v34
	v_bfi_b32 v10, s19, v10, v33
	v_cndmask_b32_e32 v36, v14, v35, vcc
	s_waitcnt vmcnt(0) lgkmcnt(0)
	v_fma_mix_f32 v10, v10, s14, v11 op_sel_hi:[0,0,1]
	v_lshlrev_b32_e32 v45, 2, v36
	v_add_f32_e32 v33, 0x40051340, v10
	v_max_f32_e32 v36, v2, v2
	v_max_f32_e32 v36, v36, v33
	ds_bpermute_b32 v37, v45, v36
	v_xor_b32_e32 v33, 8, v14
	v_cmp_lt_i32_e32 vcc, v33, v34
	v_cndmask_b32_e32 v38, v14, v33, vcc
	v_lshlrev_b32_e32 v39, 2, v38
	s_waitcnt lgkmcnt(0)
	v_max_f32_e32 v37, v37, v37
	v_max_f32_e32 v37, v36, v37
	ds_bpermute_b32 v38, v39, v37
	v_xor_b32_e32 v36, 4, v14
	v_cmp_lt_i32_e32 vcc, v36, v34
	v_cndmask_b32_e32 v40, v14, v36, vcc
	v_lshlrev_b32_e32 v40, 2, v40
	s_waitcnt lgkmcnt(0)
	;; [unrolled: 8-line block ×4, first 2 shown]
	v_max_f32_e32 v44, v44, v44
	v_max_f32_e32 v42, v42, v44
	ds_bpermute_b32 v44, v43, v42
	v_cmp_nlt_f32_e64 s[8:9], |v32|, s10
                                        ; implicit-def: $vgpr46
	s_and_saveexec_b64 s[24:25], s[8:9]
	s_xor_b64 s[8:9], exec, s[24:25]
	s_cbranch_execz .LBB22_20
; %bb.19:                               ;   in Loop: Header=BB22_14 Depth=1
	v_add_f32_e64 v46, |v32|, |v32|
	v_mul_f32_e32 v47, 0x3fb8aa3b, v46
	v_rndne_f32_e32 v48, v47
	v_sub_f32_e32 v49, v47, v48
	v_fma_f32 v47, v46, s11, -v47
	v_fmac_f32_e32 v47, 0x32a5705f, v46
	v_add_f32_e32 v47, v49, v47
	v_cvt_i32_f32_e32 v48, v48
	v_exp_f32_e32 v47, v47
	v_cmp_ngt_f32_e32 vcc, s12, v46
	v_ldexp_f32 v47, v47, v48
	v_cndmask_b32_e32 v47, 0, v47, vcc
	v_cmp_nlt_f32_e32 vcc, s13, v46
	v_cndmask_b32_e32 v46, v31, v47, vcc
	v_add_f32_e32 v46, 1.0, v46
	v_rcp_f32_e32 v46, v46
	v_fma_f32 v46, v46, -2.0, 1.0
.LBB22_20:                              ;   in Loop: Header=BB22_14 Depth=1
	s_andn2_saveexec_b64 s[8:9], s[8:9]
	s_cbranch_execz .LBB22_13
; %bb.21:                               ;   in Loop: Header=BB22_14 Depth=1
	v_mul_f32_e32 v46, v32, v32
	v_mov_b32_e32 v47, 0x3ca908c9
	v_fmac_f32_e32 v47, 0xbbbac73d, v46
	v_fma_f32 v47, v46, v47, v28
	v_fma_f32 v47, v46, v47, v29
	;; [unrolled: 1-line block ×3, first 2 shown]
	v_mul_f32_e64 v47, |v32|, v47
	v_fma_f32 v46, v46, v47, |v32|
	s_branch .LBB22_13
.LBB22_22:
	v_cmp_lt_i32_e32 vcc, v35, v34
	v_cndmask_b32_e32 v8, v14, v35, vcc
	v_lshlrev_b32_e32 v8, 2, v8
	ds_bpermute_b32 v10, v8, v6
	ds_bpermute_b32 v11, v8, v7
	v_cmp_lt_i32_e32 vcc, v33, v34
	v_cndmask_b32_e32 v8, v14, v33, vcc
	v_lshlrev_b32_e32 v8, 2, v8
	v_cmp_lt_i32_e32 vcc, v36, v34
	s_waitcnt lgkmcnt(0)
	v_pk_add_f32 v[6:7], v[6:7], v[10:11]
	ds_bpermute_b32 v10, v8, v6
	ds_bpermute_b32 v11, v8, v7
	v_cndmask_b32_e32 v8, v14, v36, vcc
	v_lshlrev_b32_e32 v8, 2, v8
	v_cmp_lt_i32_e32 vcc, v37, v34
	s_cmp_lg_u64 s[16:17], 0
	s_waitcnt lgkmcnt(0)
	v_pk_add_f32 v[6:7], v[6:7], v[10:11]
	ds_bpermute_b32 v10, v8, v6
	ds_bpermute_b32 v11, v8, v7
	v_cndmask_b32_e32 v8, v14, v37, vcc
	v_lshlrev_b32_e32 v8, 2, v8
	v_cmp_lt_i32_e32 vcc, v38, v34
	s_cselect_b64 s[0:1], -1, 0
	s_waitcnt lgkmcnt(0)
	v_pk_add_f32 v[6:7], v[6:7], v[10:11]
	ds_bpermute_b32 v10, v8, v6
	ds_bpermute_b32 v11, v8, v7
	v_cndmask_b32_e32 v8, v14, v38, vcc
	v_lshlrev_b32_e32 v8, 2, v8
	s_cmp_eq_u32 s7, 0
	s_cselect_b64 s[8:9], -1, 0
	s_waitcnt lgkmcnt(0)
	v_pk_add_f32 v[6:7], v[6:7], v[10:11]
	ds_bpermute_b32 v10, v8, v6
	ds_bpermute_b32 v11, v8, v7
	s_and_b64 s[0:1], s[8:9], s[0:1]
	s_and_b64 vcc, exec, s[0:1]
	s_waitcnt lgkmcnt(0)
	v_pk_add_f32 v[6:7], v[6:7], v[10:11]
	s_cbranch_vccz .LBB22_24
; %bb.23:
	v_add_u32_e32 v10, s29, v5
	v_ashrrev_i32_e32 v11, 31, v10
	v_lshlrev_b64 v[10:11], 2, v[10:11]
	v_mov_b32_e32 v8, s17
	v_add_co_u32_e32 v10, vcc, s16, v10
	v_addc_co_u32_e32 v11, vcc, v8, v11, vcc
	global_load_dwordx2 v[10:11], v[10:11], off
	v_max_f32_e32 v8, v3, v3
	v_max_f32_e32 v14, v2, v2
	s_mov_b32 s0, 0x3fb8aa3b
	s_mov_b32 s1, 0xc2ce8ed0
	;; [unrolled: 1-line block ×3, first 2 shown]
	v_mov_b32_e32 v18, 0x7f800000
	s_waitcnt vmcnt(0)
	v_max_f32_e32 v16, v11, v11
	v_max_f32_e32 v19, v10, v10
	;; [unrolled: 1-line block ×4, first 2 shown]
	v_pk_add_f32 v[2:3], v[2:3], v[16:17] neg_lo:[0,1] neg_hi:[0,1]
	v_mul_f32_e32 v8, 0x3fb8aa3b, v3
	v_pk_add_f32 v[10:11], v[10:11], v[16:17] neg_lo:[0,1] neg_hi:[0,1]
	v_mul_f32_e32 v14, 0x3fb8aa3b, v2
	v_fma_f32 v21, v3, s0, -v8
	v_rndne_f32_e32 v22, v8
	v_mul_f32_e32 v19, 0x3fb8aa3b, v11
	v_fma_f32 v23, v2, s0, -v14
	v_rndne_f32_e32 v24, v14
	v_fmac_f32_e32 v21, 0x32a5705f, v3
	v_sub_f32_e32 v8, v8, v22
	v_mul_f32_e32 v20, 0x3fb8aa3b, v10
	v_fma_f32 v25, v11, s0, -v19
	v_rndne_f32_e32 v26, v19
	v_fmac_f32_e32 v23, 0x32a5705f, v2
	v_sub_f32_e32 v14, v14, v24
	v_add_f32_e32 v8, v8, v21
	v_fma_f32 v27, v10, s0, -v20
	v_rndne_f32_e32 v28, v20
	v_cvt_i32_f32_e32 v22, v22
	v_fmac_f32_e32 v25, 0x32a5705f, v11
	v_sub_f32_e32 v19, v19, v26
	v_add_f32_e32 v14, v14, v23
	v_exp_f32_e32 v8, v8
	v_cvt_i32_f32_e32 v24, v24
	v_fmac_f32_e32 v27, 0x32a5705f, v10
	v_sub_f32_e32 v20, v20, v28
	v_add_f32_e32 v19, v19, v25
	v_exp_f32_e32 v14, v14
	v_cvt_i32_f32_e32 v26, v26
	v_add_f32_e32 v20, v20, v27
	v_exp_f32_e32 v19, v19
	v_cvt_i32_f32_e32 v28, v28
	v_exp_f32_e32 v20, v20
	v_ldexp_f32 v8, v8, v22
	v_cmp_ngt_f32_e32 vcc, s1, v3
	v_ldexp_f32 v14, v14, v24
	v_cndmask_b32_e32 v8, 0, v8, vcc
	v_cmp_ngt_f32_e32 vcc, s1, v2
	v_ldexp_f32 v19, v19, v26
	v_cndmask_b32_e32 v14, 0, v14, vcc
	;; [unrolled: 3-line block ×3, first 2 shown]
	v_cmp_ngt_f32_e32 vcc, s1, v10
	v_cndmask_b32_e32 v20, 0, v20, vcc
	v_cmp_nlt_f32_e32 vcc, s6, v3
	v_cndmask_b32_e32 v3, v18, v8, vcc
	v_cmp_nlt_f32_e32 vcc, s6, v2
	v_cndmask_b32_e32 v2, v18, v14, vcc
	v_cvt_f16_f32_e32 v8, v2
	v_cvt_f16_f32_e32 v14, v3
	v_cmp_nlt_f32_e32 vcc, s6, v11
	v_cndmask_b32_e32 v11, v18, v19, vcc
	v_cmp_nlt_f32_e32 vcc, s6, v10
	v_cndmask_b32_e32 v10, v18, v20, vcc
	v_pk_fma_f32 v[6:7], v[6:7], v[2:3], v[10:11]
	v_pk_mul_f16 v15, v8, v15 op_sel_hi:[0,1]
	v_pk_mul_f16 v4, v8, v4 op_sel_hi:[0,1]
	v_pk_mul_f16 v13, v14, v13 op_sel_hi:[0,1]
	v_pk_mul_f16 v9, v14, v9 op_sel_hi:[0,1]
	v_pk_mov_b32 v[2:3], v[16:17], v[16:17] op_sel:[0,1]
.LBB22_24:
	v_cmp_gt_i32_e32 vcc, s2, v1
	s_and_saveexec_b64 s[0:1], vcc
	s_cbranch_execz .LBB22_33
; %bb.25:
	s_load_dword s6, s[4:5], 0xd4
	v_mov_b32_e32 v8, 1.0
	s_waitcnt lgkmcnt(0)
	s_cmp_lg_u32 s6, 1
	s_cselect_b64 s[0:1], -1, 0
	s_cmp_eq_u32 s6, 1
	s_cselect_b64 s[4:5], -1, 0
	s_and_b64 vcc, exec, s[0:1]
	s_cbranch_vccnz .LBB22_27
; %bb.26:
	v_div_scale_f32 v8, s[8:9], v6, v6, 1.0
	v_rcp_f32_e32 v10, v8
	v_div_scale_f32 v11, vcc, 1.0, v6, 1.0
	v_fma_f32 v14, -v8, v10, 1.0
	v_fmac_f32_e32 v10, v14, v10
	v_mul_f32_e32 v14, v11, v10
	v_fma_f32 v16, -v8, v14, v11
	v_fmac_f32_e32 v14, v16, v10
	v_fma_f32 v8, -v8, v14, v11
	v_div_fmas_f32 v8, v8, v10, v14
	v_div_fixup_f32 v8, v8, v6, 1.0
.LBB22_27:
	s_mul_i32 s33, s33, s2
	v_add_u32_e32 v1, s33, v1
	v_mul_lo_u32 v1, v1, s3
	v_add3_u32 v1, s29, v5, v1
	v_cmp_eq_u32_e32 vcc, 0, v0
	v_mul_lo_u32 v0, s6, v1
	v_add_u32_e32 v0, s7, v0
	v_cvt_f32_f16_sdwa v17, v15 dst_sel:DWORD dst_unused:UNUSED_PAD src0_sel:WORD_1
	v_cvt_f32_f16_e32 v16, v15
	v_cvt_f32_f16_sdwa v5, v4 dst_sel:DWORD dst_unused:UNUSED_PAD src0_sel:WORD_1
	v_cvt_f32_f16_e32 v4, v4
	v_lshl_add_u32 v10, v0, 7, v12
	v_mov_b32_e32 v11, 0
	v_lshlrev_b64 v[10:11], 2, v[10:11]
	s_and_b64 s[0:1], vcc, s[0:1]
	v_mov_b32_e32 v1, s21
	v_add_co_u32_e32 v10, vcc, s20, v10
	v_addc_co_u32_e32 v11, vcc, v1, v11, vcc
	v_pk_mul_f32 v[14:15], v[8:9], v[16:17] op_sel_hi:[0,1]
	v_pk_mul_f32 v[16:17], v[8:9], v[4:5] op_sel_hi:[0,1]
	global_store_dwordx4 v[10:11], v[14:17], off
	s_and_saveexec_b64 s[2:3], s[0:1]
	s_cbranch_execz .LBB22_29
; %bb.28:
	v_ashrrev_i32_e32 v1, 31, v0
	v_lshlrev_b64 v[4:5], 3, v[0:1]
	v_mov_b32_e32 v1, s23
	v_add_co_u32_e32 v4, vcc, s22, v4
	v_addc_co_u32_e32 v5, vcc, v1, v5, vcc
	v_mov_b32_e32 v10, v2
	v_mov_b32_e32 v11, v6
	global_store_dwordx2 v[4:5], v[10:11], off
.LBB22_29:
	s_or_b64 exec, exec, s[2:3]
	s_andn2_b64 vcc, exec, s[4:5]
	v_mov_b32_e32 v2, 1.0
	s_cbranch_vccnz .LBB22_31
; %bb.30:
	v_div_scale_f32 v1, s[2:3], v7, v7, 1.0
	v_rcp_f32_e32 v2, v1
	v_div_scale_f32 v4, vcc, 1.0, v7, 1.0
	v_fma_f32 v5, -v1, v2, 1.0
	v_fmac_f32_e32 v2, v5, v2
	v_mul_f32_e32 v5, v4, v2
	v_fma_f32 v6, -v1, v5, v4
	v_fmac_f32_e32 v5, v6, v2
	v_fma_f32 v1, -v1, v5, v4
	v_div_fmas_f32 v1, v1, v2, v5
	v_div_fixup_f32 v2, v1, v7, 1.0
.LBB22_31:
	v_add_u32_e32 v0, s6, v0
	v_lshl_add_u32 v4, v0, 7, v12
	v_cvt_f32_f16_sdwa v11, v13 dst_sel:DWORD dst_unused:UNUSED_PAD src0_sel:WORD_1
	v_cvt_f32_f16_e32 v10, v13
	v_cvt_f32_f16_sdwa v13, v9 dst_sel:DWORD dst_unused:UNUSED_PAD src0_sel:WORD_1
	v_cvt_f32_f16_e32 v12, v9
	v_mov_b32_e32 v5, 0
	v_lshlrev_b64 v[4:5], 2, v[4:5]
	v_mov_b32_e32 v1, s21
	v_add_co_u32_e32 v4, vcc, s20, v4
	v_addc_co_u32_e32 v5, vcc, v1, v5, vcc
	v_pk_mul_f32 v[8:9], v[2:3], v[10:11] op_sel_hi:[0,1]
	v_pk_mul_f32 v[10:11], v[2:3], v[12:13] op_sel_hi:[0,1]
	global_store_dwordx4 v[4:5], v[8:11], off
	s_and_b64 exec, exec, s[0:1]
	s_cbranch_execz .LBB22_33
; %bb.32:
	v_ashrrev_i32_e32 v1, 31, v0
	v_lshlrev_b64 v[0:1], 3, v[0:1]
	v_mov_b32_e32 v2, s23
	v_add_co_u32_e32 v0, vcc, s22, v0
	v_addc_co_u32_e32 v1, vcc, v2, v1, vcc
	v_mov_b32_e32 v6, v3
	global_store_dwordx2 v[0:1], v[6:7], off
.LBB22_33:
	s_endpgm
	.section	.rodata,"a",@progbits
	.p2align	6, 0x0
	.amdhsa_kernel _ZL15flash_attn_tileILi192ELi128ELi2ELi8ELb1EEvPKcS1_S1_S1_S1_PKiPfP15HIP_vector_typeIfLj2EEffffjfiS5_IjLj3EEiiiiiiiiiiiliiliiiiil
		.amdhsa_group_segment_fixed_size 11776
		.amdhsa_private_segment_fixed_size 0
		.amdhsa_kernarg_size 464
		.amdhsa_user_sgpr_count 6
		.amdhsa_user_sgpr_private_segment_buffer 1
		.amdhsa_user_sgpr_dispatch_ptr 0
		.amdhsa_user_sgpr_queue_ptr 0
		.amdhsa_user_sgpr_kernarg_segment_ptr 1
		.amdhsa_user_sgpr_dispatch_id 0
		.amdhsa_user_sgpr_flat_scratch_init 0
		.amdhsa_user_sgpr_kernarg_preload_length 0
		.amdhsa_user_sgpr_kernarg_preload_offset 0
		.amdhsa_user_sgpr_private_segment_size 0
		.amdhsa_uses_dynamic_stack 0
		.amdhsa_system_sgpr_private_segment_wavefront_offset 0
		.amdhsa_system_sgpr_workgroup_id_x 1
		.amdhsa_system_sgpr_workgroup_id_y 1
		.amdhsa_system_sgpr_workgroup_id_z 1
		.amdhsa_system_sgpr_workgroup_info 0
		.amdhsa_system_vgpr_workitem_id 1
		.amdhsa_next_free_vgpr 96
		.amdhsa_next_free_sgpr 39
		.amdhsa_accum_offset 96
		.amdhsa_reserve_vcc 1
		.amdhsa_reserve_flat_scratch 0
		.amdhsa_float_round_mode_32 0
		.amdhsa_float_round_mode_16_64 0
		.amdhsa_float_denorm_mode_32 3
		.amdhsa_float_denorm_mode_16_64 3
		.amdhsa_dx10_clamp 1
		.amdhsa_ieee_mode 1
		.amdhsa_fp16_overflow 0
		.amdhsa_tg_split 0
		.amdhsa_exception_fp_ieee_invalid_op 0
		.amdhsa_exception_fp_denorm_src 0
		.amdhsa_exception_fp_ieee_div_zero 0
		.amdhsa_exception_fp_ieee_overflow 0
		.amdhsa_exception_fp_ieee_underflow 0
		.amdhsa_exception_fp_ieee_inexact 0
		.amdhsa_exception_int_div_zero 0
	.end_amdhsa_kernel
	.section	.text._ZL15flash_attn_tileILi192ELi128ELi2ELi8ELb1EEvPKcS1_S1_S1_S1_PKiPfP15HIP_vector_typeIfLj2EEffffjfiS5_IjLj3EEiiiiiiiiiiiliiliiiiil,"axG",@progbits,_ZL15flash_attn_tileILi192ELi128ELi2ELi8ELb1EEvPKcS1_S1_S1_S1_PKiPfP15HIP_vector_typeIfLj2EEffffjfiS5_IjLj3EEiiiiiiiiiiiliiliiiiil,comdat
.Lfunc_end22:
	.size	_ZL15flash_attn_tileILi192ELi128ELi2ELi8ELb1EEvPKcS1_S1_S1_S1_PKiPfP15HIP_vector_typeIfLj2EEffffjfiS5_IjLj3EEiiiiiiiiiiiliiliiiiil, .Lfunc_end22-_ZL15flash_attn_tileILi192ELi128ELi2ELi8ELb1EEvPKcS1_S1_S1_S1_PKiPfP15HIP_vector_typeIfLj2EEffffjfiS5_IjLj3EEiiiiiiiiiiiliiliiiiil
                                        ; -- End function
	.section	.AMDGPU.csdata,"",@progbits
; Kernel info:
; codeLenInByte = 8032
; NumSgprs: 43
; NumVgprs: 96
; NumAgprs: 0
; TotalNumVgprs: 96
; ScratchSize: 0
; MemoryBound: 0
; FloatMode: 240
; IeeeMode: 1
; LDSByteSize: 11776 bytes/workgroup (compile time only)
; SGPRBlocks: 5
; VGPRBlocks: 11
; NumSGPRsForWavesPerEU: 43
; NumVGPRsForWavesPerEU: 96
; AccumOffset: 96
; Occupancy: 5
; WaveLimiterHint : 1
; COMPUTE_PGM_RSRC2:SCRATCH_EN: 0
; COMPUTE_PGM_RSRC2:USER_SGPR: 6
; COMPUTE_PGM_RSRC2:TRAP_HANDLER: 0
; COMPUTE_PGM_RSRC2:TGID_X_EN: 1
; COMPUTE_PGM_RSRC2:TGID_Y_EN: 1
; COMPUTE_PGM_RSRC2:TGID_Z_EN: 1
; COMPUTE_PGM_RSRC2:TIDIG_COMP_CNT: 1
; COMPUTE_PGM_RSRC3_GFX90A:ACCUM_OFFSET: 23
; COMPUTE_PGM_RSRC3_GFX90A:TG_SPLIT: 0
	.section	.text._ZL15flash_attn_tileILi192ELi128ELi1ELi8ELb1EEvPKcS1_S1_S1_S1_PKiPfP15HIP_vector_typeIfLj2EEffffjfiS5_IjLj3EEiiiiiiiiiiiliiliiiiil,"axG",@progbits,_ZL15flash_attn_tileILi192ELi128ELi1ELi8ELb1EEvPKcS1_S1_S1_S1_PKiPfP15HIP_vector_typeIfLj2EEffffjfiS5_IjLj3EEiiiiiiiiiiiliiliiiiil,comdat
	.globl	_ZL15flash_attn_tileILi192ELi128ELi1ELi8ELb1EEvPKcS1_S1_S1_S1_PKiPfP15HIP_vector_typeIfLj2EEffffjfiS5_IjLj3EEiiiiiiiiiiiliiliiiiil ; -- Begin function _ZL15flash_attn_tileILi192ELi128ELi1ELi8ELb1EEvPKcS1_S1_S1_S1_PKiPfP15HIP_vector_typeIfLj2EEffffjfiS5_IjLj3EEiiiiiiiiiiiliiliiiiil
	.p2align	8
	.type	_ZL15flash_attn_tileILi192ELi128ELi1ELi8ELb1EEvPKcS1_S1_S1_S1_PKiPfP15HIP_vector_typeIfLj2EEffffjfiS5_IjLj3EEiiiiiiiiiiiliiliiiiil,@function
_ZL15flash_attn_tileILi192ELi128ELi1ELi8ELb1EEvPKcS1_S1_S1_S1_PKiPfP15HIP_vector_typeIfLj2EEffffjfiS5_IjLj3EEiiiiiiiiiiiliiliiiiil: ; @_ZL15flash_attn_tileILi192ELi128ELi1ELi8ELb1EEvPKcS1_S1_S1_S1_PKiPfP15HIP_vector_typeIfLj2EEffffjfiS5_IjLj3EEiiiiiiiiiiiliiliiiiil
; %bb.0:
	s_load_dwordx4 s[0:3], s[4:5], 0x5c
	s_load_dwordx2 s[24:25], s[4:5], 0x80
	s_load_dwordx2 s[28:29], s[4:5], 0xb8
	s_mov_b64 s[26:27], 0
	s_waitcnt lgkmcnt(0)
	s_ashr_i32 s9, s3, 31
	s_lshr_b32 s9, s9, 29
	s_add_i32 s9, s3, s9
	s_ashr_i32 s9, s9, 3
	v_cvt_f32_u32_e32 v1, s9
	s_sub_i32 s10, 0, s9
	v_rcp_iflag_f32_e32 v1, v1
	v_mul_f32_e32 v1, 0x4f7ffffe, v1
	v_cvt_u32_f32_e32 v1, v1
	v_readfirstlane_b32 s11, v1
	s_mul_i32 s10, s10, s11
	s_mul_hi_u32 s10, s11, s10
	s_add_i32 s11, s11, s10
	s_mul_hi_u32 s10, s8, s11
	s_mul_i32 s11, s10, s9
	s_sub_i32 s11, s8, s11
	s_add_i32 s12, s10, 1
	s_sub_i32 s13, s11, s9
	s_cmp_ge_u32 s11, s9
	s_cselect_b32 s10, s12, s10
	s_cselect_b32 s11, s13, s11
	s_add_i32 s12, s10, 1
	s_cmp_ge_u32 s11, s9
	s_cselect_b32 s30, s12, s10
	s_abs_i32 s9, s25
	v_cvt_f32_u32_e32 v1, s9
	s_lshl_b32 s8, s8, 3
	s_mul_i32 s12, s30, s3
	s_xor_b32 s10, s3, s25
	v_rcp_iflag_f32_e32 v1, v1
	s_sub_i32 s13, 0, s9
	s_sub_i32 s25, s8, s12
	s_abs_i32 s11, s3
	v_mul_f32_e32 v1, 0x4f7ffffe, v1
	v_cvt_u32_f32_e32 v1, v1
	s_ashr_i32 s10, s10, 31
	v_readfirstlane_b32 s8, v1
	s_mul_i32 s13, s13, s8
	s_mul_hi_u32 s12, s8, s13
	s_add_i32 s8, s8, s12
	s_mul_hi_u32 s8, s11, s8
	s_mul_i32 s12, s8, s9
	s_sub_i32 s11, s11, s12
	s_add_i32 s13, s8, 1
	s_sub_i32 s12, s11, s9
	s_cmp_ge_u32 s11, s9
	s_cselect_b32 s8, s13, s8
	s_cselect_b32 s11, s12, s11
	s_add_i32 s12, s8, 1
	s_cmp_ge_u32 s11, s9
	s_cselect_b32 s8, s12, s8
	s_xor_b32 s8, s8, s10
	s_sub_i32 s33, s8, s10
	s_abs_i32 s31, s33
	v_cvt_f32_u32_e32 v1, s31
	s_load_dwordx16 s[8:23], s[4:5], 0x0
	v_rcp_iflag_f32_e32 v1, v1
	s_waitcnt lgkmcnt(0)
	s_cmp_eq_u64 s[14:15], 0
	v_mul_f32_e32 v1, 0x4f7ffffe, v1
	v_cvt_u32_f32_e32 v1, v1
	v_readfirstlane_b32 s34, v1
	s_cbranch_scc1 .LBB23_2
; %bb.1:
	s_abs_i32 s28, s28
	v_cvt_f32_u32_e32 v1, s28
	s_sub_i32 s37, 0, s28
	s_abs_i32 s36, s30
	s_ashr_i32 s35, s30, 31
	v_rcp_iflag_f32_e32 v1, v1
	s_load_dwordx2 s[26:27], s[4:5], 0xc8
	v_mul_f32_e32 v1, 0x4f7ffffe, v1
	v_cvt_u32_f32_e32 v1, v1
	v_readfirstlane_b32 s38, v1
	s_mul_i32 s37, s37, s38
	s_mul_hi_u32 s37, s38, s37
	s_add_i32 s38, s38, s37
	s_mul_hi_u32 s37, s36, s38
	s_mul_i32 s37, s37, s28
	s_sub_i32 s36, s36, s37
	s_sub_i32 s37, s36, s28
	s_cmp_ge_u32 s36, s28
	s_cselect_b32 s36, s37, s36
	s_sub_i32 s37, s36, s28
	s_cmp_ge_u32 s36, s28
	s_cselect_b32 s28, s37, s36
	s_xor_b32 s28, s28, s35
	s_sub_i32 s28, s28, s35
	s_ashr_i32 s35, s28, 31
	s_waitcnt lgkmcnt(0)
	s_mul_i32 s27, s28, s27
	s_mul_hi_u32 s36, s28, s26
	s_add_i32 s27, s36, s27
	s_mul_i32 s35, s35, s26
	s_add_i32 s27, s27, s35
	s_mul_i32 s28, s28, s26
	s_add_u32 s26, s14, s28
	s_addc_u32 s27, s15, s27
.LBB23_2:
	s_load_dwordx4 s[36:39], s[4:5], 0x70
	v_bfe_u32 v2, v0, 10, 10
	v_lshrrev_b32_e32 v3, 3, v2
	v_and_b32_e32 v4, 0x3ff, v0
	v_and_b32_e32 v17, 7, v2
	s_waitcnt lgkmcnt(0)
	s_mul_i32 s14, s30, s38
	s_ashr_i32 s28, s14, 31
	s_mul_i32 s15, s25, s37
	s_add_u32 s8, s8, s14
	s_addc_u32 s9, s9, s28
	s_ashr_i32 s14, s15, 31
	s_add_u32 s15, s8, s15
	s_addc_u32 s14, s9, s14
	s_ashr_i32 s28, s37, 31
	v_mov_b32_e32 v0, s37
	v_alignbit_b32 v0, s28, v0, 2
	v_add_u32_e32 v5, s6, v3
	v_mad_u64_u32 v[0:1], s[8:9], v0, v17, 0
	v_mul_hi_u32 v3, s0, v5
	v_mov_b32_e32 v6, v1
	s_lshr_b32 s8, s28, 2
	v_add_u32_e32 v3, v5, v3
	v_mad_u64_u32 v[6:7], s[8:9], s8, v17, v[6:7]
	v_lshrrev_b32_e32 v3, s1, v3
	v_mov_b32_e32 v1, v6
	v_mul_lo_u32 v3, v3, s2
	s_ashr_i32 s8, s36, 31
	v_mov_b32_e32 v6, s36
	v_sub_u32_e32 v3, v5, v3
	v_alignbit_b32 v6, s8, v6, 2
	v_mad_u64_u32 v[6:7], s[0:1], v6, v3, 0
	v_mov_b32_e32 v8, v7
	s_lshr_b32 s0, s8, 2
	v_mad_u64_u32 v[8:9], s[0:1], s0, v3, v[8:9]
	v_lshlrev_b64 v[0:1], 2, v[0:1]
	v_mov_b32_e32 v7, v8
	v_mov_b32_e32 v8, s14
	v_add_co_u32_e32 v9, vcc, s15, v0
	v_addc_co_u32_e32 v8, vcc, v8, v1, vcc
	v_lshlrev_b64 v[0:1], 2, v[6:7]
	v_add_co_u32_e32 v0, vcc, v9, v0
	v_addc_co_u32_e32 v1, vcc, v8, v1, vcc
	v_lshlrev_b32_e32 v6, 4, v4
	v_add_co_u32_e32 v0, vcc, v0, v6
	v_addc_co_u32_e32 v1, vcc, 0, v1, vcc
	global_load_dwordx4 v[6:9], v[0:1], off
	s_load_dword s0, s[4:5], 0x40
	v_mul_u32_u24_e32 v10, 0x60, v2
	v_cmp_gt_u32_e32 vcc, 16, v4
	s_waitcnt vmcnt(0) lgkmcnt(0)
	v_pk_mul_f32 v[6:7], v[6:7], s[0:1] op_sel_hi:[1,0]
	v_pk_mul_f32 v[8:9], v[8:9], s[0:1] op_sel_hi:[1,0]
	v_cvt_f16_f32_e32 v7, v7
	v_cvt_f16_f32_e32 v9, v9
	;; [unrolled: 1-line block ×4, first 2 shown]
	v_lshlrev_b32_e32 v6, 1, v4
	v_add_lshl_u32 v6, v6, v10, 2
	v_pack_b32_f16 v9, v8, v9
	v_pack_b32_f16 v8, v11, v7
	ds_write_b64 v6, v[8:9] offset:9216
	s_and_saveexec_b64 s[8:9], vcc
	s_cbranch_execz .LBB23_4
; %bb.3:
	global_load_dwordx4 v[8:11], v[0:1], off offset:512
	s_mov_b32 s1, s0
	v_add_u32_e32 v6, 0x2400, v6
	s_waitcnt vmcnt(0)
	v_pk_mul_f32 v[0:1], v[8:9], s[0:1]
	v_pk_mul_f32 v[8:9], v[10:11], s[0:1]
	v_cvt_f16_f32_e32 v1, v1
	v_cvt_f16_f32_e32 v0, v0
	;; [unrolled: 1-line block ×4, first 2 shown]
	v_pack_b32_f16 v0, v0, v1
	v_pack_b32_f16 v1, v8, v7
	ds_write_b64 v6, v[0:1] offset:256
.LBB23_4:
	s_or_b64 exec, exec, s[8:9]
	s_cmp_eq_u64 s[18:19], 0
	s_waitcnt lgkmcnt(0)
	s_barrier
	s_cbranch_scc1 .LBB23_6
; %bb.5:
	s_load_dword s0, s[4:5], 0xd0
	s_mov_b32 s1, 0
	s_waitcnt lgkmcnt(0)
	s_mul_i32 s0, s0, s30
	s_add_i32 s0, s0, s6
	s_lshl_b64 s[0:1], s[0:1], 2
	s_add_u32 s0, s18, s0
	s_addc_u32 s1, s19, s1
	s_load_dword s24, s[0:1], 0x0
.LBB23_6:
	s_lshl_b32 s6, s7, 6
	s_waitcnt lgkmcnt(0)
	s_cmp_lt_i32 s6, s24
	v_mbcnt_lo_u32_b32 v0, -1, 0
	s_cbranch_scc1 .LBB23_8
; %bb.7:
	v_mbcnt_hi_u32_b32 v7, -1, v0
	v_and_b32_e32 v1, 0x60, v7
	s_mov_b32 s8, 0
	v_add_u32_e32 v38, 32, v1
	v_xor_b32_e32 v39, 16, v7
	v_xor_b32_e32 v40, 8, v7
	v_xor_b32_e32 v41, 4, v7
	v_xor_b32_e32 v42, 2, v7
	v_xor_b32_e32 v43, 1, v7
	s_mov_b64 s[0:1], 0
	s_mov_b32 s9, 0xfeffffff
	s_branch .LBB23_9
.LBB23_8:
	s_mov_b64 s[0:1], -1
                                        ; implicit-def: $sgpr9
                                        ; implicit-def: $sgpr8
                                        ; implicit-def: $vgpr7
                                        ; implicit-def: $vgpr38
                                        ; implicit-def: $vgpr39
                                        ; implicit-def: $vgpr40
                                        ; implicit-def: $vgpr41
                                        ; implicit-def: $vgpr42
                                        ; implicit-def: $vgpr43
.LBB23_9:
	v_lshlrev_b32_e32 v18, 2, v4
	s_andn2_b64 vcc, exec, s[0:1]
	v_mov_b32_e32 v16, s9
	v_mov_b32_e32 v44, s8
	;; [unrolled: 1-line block ×4, first 2 shown]
	s_cbranch_vccnz .LBB23_21
; %bb.10:
	s_sub_i32 s0, 0, s31
	s_mul_i32 s0, s0, s34
	s_mul_hi_u32 s0, s34, s0
	s_add_i32 s34, s34, s0
	s_load_dword s14, s[4:5], 0x54
	s_load_dwordx2 s[0:1], s[4:5], 0x8c
	s_load_dwordx4 s[36:39], s[4:5], 0x98
	s_load_dwordx2 s[8:9], s[4:5], 0xa8
	s_abs_i32 s19, s25
	s_mul_hi_u32 s28, s19, s34
	s_waitcnt lgkmcnt(0)
	s_ashr_i32 s15, s0, 2
	s_ashr_i32 s0, s29, 1
	;; [unrolled: 1-line block ×3, first 2 shown]
	s_mul_i32 s35, s30, s37
	s_mul_hi_u32 s37, s30, s36
	s_add_i32 s35, s37, s35
	s_mul_i32 s37, s29, s36
	s_ashr_i32 s34, s25, 31
	s_ashr_i32 s33, s33, 31
	;; [unrolled: 1-line block ×3, first 2 shown]
	s_add_i32 s35, s35, s37
	s_mul_i32 s36, s30, s36
	s_add_u32 s10, s10, s36
	s_addc_u32 s11, s11, s35
	s_xor_b32 s33, s34, s33
	s_mul_i32 s34, s28, s31
	s_sub_i32 s19, s19, s34
	s_add_i32 s34, s28, 1
	s_sub_i32 s35, s19, s31
	s_cmp_ge_u32 s19, s31
	s_cselect_b32 s28, s34, s28
	s_cselect_b32 s19, s35, s19
	s_add_i32 s34, s28, 1
	s_cmp_ge_u32 s19, s31
	s_cselect_b32 s19, s34, s28
	s_xor_b32 s19, s19, s33
	s_sub_i32 s19, s19, s33
	s_mul_i32 s1, s19, s1
	s_ashr_i32 s28, s1, 31
	s_add_u32 s10, s10, s1
	s_mul_i32 s1, s30, s9
	s_mul_hi_u32 s9, s30, s8
	s_addc_u32 s11, s11, s28
	s_add_i32 s1, s9, s1
	s_mul_i32 s29, s29, s8
	s_add_i32 s1, s1, s29
	s_mul_i32 s8, s30, s8
	s_add_u32 s8, s12, s8
	s_mul_i32 s19, s19, s39
	s_addc_u32 s1, s13, s1
	s_ashr_i32 s9, s19, 31
	s_add_u32 s12, s8, s19
	v_lshrrev_b32_e32 v1, 3, v4
	v_and_b32_e32 v10, 28, v18
	s_addc_u32 s13, s1, s9
	v_lshl_add_u32 v1, v2, 2, v1
	v_lshlrev_b32_e32 v6, 2, v10
	s_movk_i32 s1, 0x90
	v_mad_u32_u24 v19, v1, s1, v6
	v_mul_lo_u32 v8, s15, v1
	s_movk_i32 s1, 0x180
	v_mov_b32_e32 v1, 0x2400
	v_mad_u32_u24 v21, v2, s1, v1
	v_mov_b32_e32 v1, 0x3000
	v_lshl_add_u32 v23, v2, 7, v1
	v_lshrrev_b32_e32 v1, 4, v4
	v_lshl_add_u32 v1, v2, 1, v1
	v_and_b32_e32 v2, 60, v18
	v_mul_lo_u32 v14, s18, v1
	v_lshl_add_u32 v12, s15, 5, v8
	v_mad_u64_u32 v[6:7], s[0:1], v3, s0, v[4:5]
	v_lshlrev_b32_e32 v3, 2, v2
	v_lshl_add_u32 v38, s18, 4, v14
	v_ashrrev_i32_e32 v9, 31, v8
	v_ashrrev_i32_e32 v13, 31, v12
	v_lshl_or_b32 v25, v1, 8, v3
	v_ashrrev_i32_e32 v15, 31, v14
	v_ashrrev_i32_e32 v39, 31, v38
	s_add_u32 s0, s4, 0xd0
	v_mov_b32_e32 v34, 0
	v_add_u32_e32 v20, 0x1200, v19
	v_mul_u32_u24_e32 v22, 0x90, v4
	v_lshl_add_u32 v24, v4, 1, v23
	v_add_u32_e32 v26, 0x1000, v25
	v_lshlrev_b32_e32 v27, 3, v4
	s_addc_u32 s1, s5, 0
	v_mov_b32_e32 v37, 0xfeffffff
	v_lshlrev_b64 v[8:9], 2, v[8:9]
	v_lshlrev_b32_e32 v28, 2, v10
	v_lshlrev_b64 v[10:11], 2, v[12:13]
	s_mov_b32 s19, 0x3f200000
	s_mov_b32 s28, 0x3fb8aa3b
	;; [unrolled: 1-line block ×4, first 2 shown]
	v_mov_b32_e32 v29, 0xbd5c1c4e
	v_mov_b32_e32 v30, 0x3e088382
	;; [unrolled: 1-line block ×3, first 2 shown]
	s_brev_b32 s33, -2
	v_mbcnt_hi_u32_b32 v7, -1, v0
	v_lshlrev_b64 v[12:13], 2, v[14:15]
	v_lshlrev_b32_e32 v32, 2, v2
	v_lshlrev_b64 v[14:15], 2, v[38:39]
	v_mov_b32_e32 v33, 0x7f800000
	v_mov_b32_e32 v35, 0
	;; [unrolled: 1-line block ×3, first 2 shown]
.LBB23_11:                              ; =>This Inner Loop Header: Depth=1
	s_mul_hi_i32 s9, s6, s15
	s_mul_i32 s8, s6, s15
	s_lshl_b64 s[8:9], s[8:9], 2
	s_add_u32 s8, s10, s8
	s_addc_u32 s9, s11, s9
	v_mov_b32_e32 v0, s9
	v_add_co_u32_e32 v1, vcc, s8, v8
	v_addc_co_u32_e32 v2, vcc, v0, v9, vcc
	v_add_co_u32_e32 v0, vcc, v1, v28
	v_addc_co_u32_e32 v1, vcc, 0, v2, vcc
	v_mov_b32_e32 v2, s9
	v_add_co_u32_e32 v3, vcc, s8, v10
	v_addc_co_u32_e32 v16, vcc, v2, v11, vcc
	v_add_co_u32_e32 v2, vcc, v3, v28
	v_addc_co_u32_e32 v3, vcc, 0, v16, vcc
	global_load_dwordx4 v[38:41], v[0:1], off
	global_load_dwordx4 v[42:45], v[2:3], off
	v_mov_b32_e32 v16, 0
	s_waitcnt vmcnt(1)
	ds_write_b128 v19, v[38:41]
	s_waitcnt vmcnt(0)
	ds_write_b128 v20, v[42:45]
	s_waitcnt lgkmcnt(0)
	s_barrier
	ds_read_b128 v[40:43], v22
	ds_read_b128 v[44:47], v21
	ds_read_b128 v[48:51], v22 offset:4608
	s_waitcnt lgkmcnt(1)
	;;#ASMSTART
	v_dot2_f32_f16 v16, v40, v44, v16
	;;#ASMEND
	;;#ASMSTART
	v_dot2_f32_f16 v16, v41, v45, v16
	;;#ASMEND
	v_mov_b32_e32 v38, 0
	;;#ASMSTART
	v_dot2_f32_f16 v16, v42, v46, v16
	;;#ASMEND
	;;#ASMSTART
	v_dot2_f32_f16 v16, v43, v47, v16
	;;#ASMEND
	s_waitcnt lgkmcnt(0)
	;;#ASMSTART
	v_dot2_f32_f16 v38, v48, v44, v38
	;;#ASMEND
	;;#ASMSTART
	v_dot2_f32_f16 v38, v49, v45, v38
	;;#ASMEND
	;;#ASMSTART
	v_dot2_f32_f16 v38, v50, v46, v38
	;;#ASMEND
	;;#ASMSTART
	v_dot2_f32_f16 v38, v51, v47, v38
	;;#ASMEND
	ds_read_b128 v[40:43], v22 offset:16
	ds_read_b128 v[44:47], v21 offset:16
	ds_read_b128 v[48:51], v22 offset:4624
	s_waitcnt lgkmcnt(1)
	;;#ASMSTART
	v_dot2_f32_f16 v16, v40, v44, v16
	;;#ASMEND
	;;#ASMSTART
	v_dot2_f32_f16 v16, v41, v45, v16
	;;#ASMEND
	;;#ASMSTART
	v_dot2_f32_f16 v16, v42, v46, v16
	;;#ASMEND
	;;#ASMSTART
	v_dot2_f32_f16 v16, v43, v47, v16
	;;#ASMEND
	s_waitcnt lgkmcnt(0)
	;;#ASMSTART
	v_dot2_f32_f16 v38, v48, v44, v38
	;;#ASMEND
	;;#ASMSTART
	v_dot2_f32_f16 v38, v49, v45, v38
	;;#ASMEND
	;;#ASMSTART
	v_dot2_f32_f16 v38, v50, v46, v38
	;;#ASMEND
	;;#ASMSTART
	v_dot2_f32_f16 v38, v51, v47, v38
	;;#ASMEND
	ds_read_b128 v[40:43], v22 offset:32
	ds_read_b128 v[44:47], v21 offset:32
	ds_read_b128 v[48:51], v22 offset:4640
	s_waitcnt lgkmcnt(1)
	;;#ASMSTART
	v_dot2_f32_f16 v16, v40, v44, v16
	;;#ASMEND
	;;#ASMSTART
	v_dot2_f32_f16 v16, v41, v45, v16
	;;#ASMEND
	;; [unrolled: 29-line block ×7, first 2 shown]
	;;#ASMSTART
	v_dot2_f32_f16 v16, v42, v46, v16
	;;#ASMEND
	;;#ASMSTART
	v_dot2_f32_f16 v16, v43, v47, v16
	;;#ASMEND
	s_waitcnt lgkmcnt(0)
	;;#ASMSTART
	v_dot2_f32_f16 v38, v48, v44, v38
	;;#ASMEND
	;;#ASMSTART
	v_dot2_f32_f16 v38, v49, v45, v38
	;;#ASMEND
	;; [unrolled: 3-line block ×4, first 2 shown]
	s_barrier
	global_load_dwordx4 v[40:43], v[0:1], off offset:128
	global_load_dwordx4 v[44:47], v[2:3], off offset:128
	s_waitcnt vmcnt(1)
	ds_write_b128 v19, v[40:43]
	s_waitcnt vmcnt(0)
	ds_write_b128 v20, v[44:47]
	s_waitcnt lgkmcnt(0)
	s_barrier
	ds_read_b128 v[40:43], v22
	ds_read_b128 v[44:47], v21 offset:128
	ds_read_b128 v[48:51], v22 offset:4608
	s_waitcnt lgkmcnt(1)
	;;#ASMSTART
	v_dot2_f32_f16 v16, v40, v44, v16
	;;#ASMEND
	;;#ASMSTART
	v_dot2_f32_f16 v16, v41, v45, v16
	;;#ASMEND
	;;#ASMSTART
	v_dot2_f32_f16 v16, v42, v46, v16
	;;#ASMEND
	;;#ASMSTART
	v_dot2_f32_f16 v16, v43, v47, v16
	;;#ASMEND
	s_waitcnt lgkmcnt(0)
	;;#ASMSTART
	v_dot2_f32_f16 v38, v48, v44, v38
	;;#ASMEND
	;;#ASMSTART
	v_dot2_f32_f16 v38, v49, v45, v38
	;;#ASMEND
	;;#ASMSTART
	v_dot2_f32_f16 v38, v50, v46, v38
	;;#ASMEND
	;;#ASMSTART
	v_dot2_f32_f16 v38, v51, v47, v38
	;;#ASMEND
	ds_read_b128 v[40:43], v22 offset:16
	ds_read_b128 v[44:47], v21 offset:144
	ds_read_b128 v[48:51], v22 offset:4624
	s_waitcnt lgkmcnt(1)
	;;#ASMSTART
	v_dot2_f32_f16 v16, v40, v44, v16
	;;#ASMEND
	;;#ASMSTART
	v_dot2_f32_f16 v16, v41, v45, v16
	;;#ASMEND
	;;#ASMSTART
	v_dot2_f32_f16 v16, v42, v46, v16
	;;#ASMEND
	;;#ASMSTART
	v_dot2_f32_f16 v16, v43, v47, v16
	;;#ASMEND
	s_waitcnt lgkmcnt(0)
	;;#ASMSTART
	v_dot2_f32_f16 v38, v48, v44, v38
	;;#ASMEND
	;;#ASMSTART
	v_dot2_f32_f16 v38, v49, v45, v38
	;;#ASMEND
	;;#ASMSTART
	v_dot2_f32_f16 v38, v50, v46, v38
	;;#ASMEND
	;;#ASMSTART
	v_dot2_f32_f16 v38, v51, v47, v38
	;;#ASMEND
	ds_read_b128 v[40:43], v22 offset:32
	ds_read_b128 v[44:47], v21 offset:160
	ds_read_b128 v[48:51], v22 offset:4640
	s_waitcnt lgkmcnt(1)
	;;#ASMSTART
	v_dot2_f32_f16 v16, v40, v44, v16
	;;#ASMEND
	;;#ASMSTART
	v_dot2_f32_f16 v16, v41, v45, v16
	;;#ASMEND
	;;#ASMSTART
	v_dot2_f32_f16 v16, v42, v46, v16
	;;#ASMEND
	;;#ASMSTART
	v_dot2_f32_f16 v16, v43, v47, v16
	;;#ASMEND
	s_waitcnt lgkmcnt(0)
	;;#ASMSTART
	v_dot2_f32_f16 v38, v48, v44, v38
	;;#ASMEND
	;;#ASMSTART
	v_dot2_f32_f16 v38, v49, v45, v38
	;;#ASMEND
	;;#ASMSTART
	v_dot2_f32_f16 v38, v50, v46, v38
	;;#ASMEND
	;;#ASMSTART
	v_dot2_f32_f16 v38, v51, v47, v38
	;;#ASMEND
	ds_read_b128 v[40:43], v22 offset:48
	ds_read_b128 v[44:47], v21 offset:176
	ds_read_b128 v[48:51], v22 offset:4656
	s_waitcnt lgkmcnt(1)
	;;#ASMSTART
	v_dot2_f32_f16 v16, v40, v44, v16
	;;#ASMEND
	;;#ASMSTART
	v_dot2_f32_f16 v16, v41, v45, v16
	;;#ASMEND
	;;#ASMSTART
	v_dot2_f32_f16 v16, v42, v46, v16
	;;#ASMEND
	;;#ASMSTART
	v_dot2_f32_f16 v16, v43, v47, v16
	;;#ASMEND
	s_waitcnt lgkmcnt(0)
	;;#ASMSTART
	v_dot2_f32_f16 v38, v48, v44, v38
	;;#ASMEND
	;;#ASMSTART
	v_dot2_f32_f16 v38, v49, v45, v38
	;;#ASMEND
	;;#ASMSTART
	v_dot2_f32_f16 v38, v50, v46, v38
	;;#ASMEND
	;;#ASMSTART
	v_dot2_f32_f16 v38, v51, v47, v38
	;;#ASMEND
	ds_read_b128 v[40:43], v22 offset:64
	ds_read_b128 v[44:47], v21 offset:192
	ds_read_b128 v[48:51], v22 offset:4672
	s_waitcnt lgkmcnt(1)
	;;#ASMSTART
	v_dot2_f32_f16 v16, v40, v44, v16
	;;#ASMEND
	;;#ASMSTART
	v_dot2_f32_f16 v16, v41, v45, v16
	;;#ASMEND
	;;#ASMSTART
	v_dot2_f32_f16 v16, v42, v46, v16
	;;#ASMEND
	;;#ASMSTART
	v_dot2_f32_f16 v16, v43, v47, v16
	;;#ASMEND
	s_waitcnt lgkmcnt(0)
	;;#ASMSTART
	v_dot2_f32_f16 v38, v48, v44, v38
	;;#ASMEND
	;;#ASMSTART
	v_dot2_f32_f16 v38, v49, v45, v38
	;;#ASMEND
	;;#ASMSTART
	v_dot2_f32_f16 v38, v50, v46, v38
	;;#ASMEND
	;;#ASMSTART
	v_dot2_f32_f16 v38, v51, v47, v38
	;;#ASMEND
	ds_read_b128 v[40:43], v22 offset:80
	ds_read_b128 v[44:47], v21 offset:208
	ds_read_b128 v[48:51], v22 offset:4688
	s_waitcnt lgkmcnt(1)
	;;#ASMSTART
	v_dot2_f32_f16 v16, v40, v44, v16
	;;#ASMEND
	;;#ASMSTART
	v_dot2_f32_f16 v16, v41, v45, v16
	;;#ASMEND
	;;#ASMSTART
	v_dot2_f32_f16 v16, v42, v46, v16
	;;#ASMEND
	;;#ASMSTART
	v_dot2_f32_f16 v16, v43, v47, v16
	;;#ASMEND
	s_waitcnt lgkmcnt(0)
	;;#ASMSTART
	v_dot2_f32_f16 v38, v48, v44, v38
	;;#ASMEND
	;;#ASMSTART
	v_dot2_f32_f16 v38, v49, v45, v38
	;;#ASMEND
	;;#ASMSTART
	v_dot2_f32_f16 v38, v50, v46, v38
	;;#ASMEND
	;;#ASMSTART
	v_dot2_f32_f16 v38, v51, v47, v38
	;;#ASMEND
	ds_read_b128 v[40:43], v22 offset:96
	ds_read_b128 v[44:47], v21 offset:224
	ds_read_b128 v[48:51], v22 offset:4704
	s_waitcnt lgkmcnt(1)
	;;#ASMSTART
	v_dot2_f32_f16 v16, v40, v44, v16
	;;#ASMEND
	;;#ASMSTART
	v_dot2_f32_f16 v16, v41, v45, v16
	;;#ASMEND
	;;#ASMSTART
	v_dot2_f32_f16 v16, v42, v46, v16
	;;#ASMEND
	;;#ASMSTART
	v_dot2_f32_f16 v16, v43, v47, v16
	;;#ASMEND
	s_waitcnt lgkmcnt(0)
	;;#ASMSTART
	v_dot2_f32_f16 v38, v48, v44, v38
	;;#ASMEND
	;;#ASMSTART
	v_dot2_f32_f16 v38, v49, v45, v38
	;;#ASMEND
	;;#ASMSTART
	v_dot2_f32_f16 v38, v50, v46, v38
	;;#ASMEND
	;;#ASMSTART
	v_dot2_f32_f16 v38, v51, v47, v38
	;;#ASMEND
	ds_read_b128 v[40:43], v22 offset:112
	ds_read_b128 v[44:47], v21 offset:240
	ds_read_b128 v[48:51], v22 offset:4720
	s_waitcnt lgkmcnt(1)
	;;#ASMSTART
	v_dot2_f32_f16 v16, v40, v44, v16
	;;#ASMEND
	;;#ASMSTART
	v_dot2_f32_f16 v16, v41, v45, v16
	;;#ASMEND
	;; [unrolled: 3-line block ×4, first 2 shown]
	s_waitcnt lgkmcnt(0)
	;;#ASMSTART
	v_dot2_f32_f16 v38, v48, v44, v38
	;;#ASMEND
	;;#ASMSTART
	v_dot2_f32_f16 v38, v49, v45, v38
	;;#ASMEND
	;; [unrolled: 3-line block ×4, first 2 shown]
	s_barrier
	global_load_dwordx4 v[40:43], v[0:1], off offset:256
	global_load_dwordx4 v[44:47], v[2:3], off offset:256
	s_waitcnt vmcnt(1)
	ds_write_b128 v19, v[40:43]
	s_waitcnt vmcnt(0)
	ds_write_b128 v20, v[44:47]
	s_waitcnt lgkmcnt(0)
	s_barrier
	ds_read_b128 v[0:3], v22
	ds_read_b128 v[40:43], v21 offset:256
	ds_read_b128 v[44:47], v22 offset:4608
	s_waitcnt lgkmcnt(1)
	;;#ASMSTART
	v_dot2_f32_f16 v16, v0, v40, v16
	;;#ASMEND
	;;#ASMSTART
	v_dot2_f32_f16 v16, v1, v41, v16
	;;#ASMEND
	;;#ASMSTART
	v_dot2_f32_f16 v16, v2, v42, v16
	;;#ASMEND
	;;#ASMSTART
	v_dot2_f32_f16 v16, v3, v43, v16
	;;#ASMEND
	s_waitcnt lgkmcnt(0)
	;;#ASMSTART
	v_dot2_f32_f16 v38, v44, v40, v38
	;;#ASMEND
	;;#ASMSTART
	v_dot2_f32_f16 v38, v45, v41, v38
	;;#ASMEND
	;;#ASMSTART
	v_dot2_f32_f16 v38, v46, v42, v38
	;;#ASMEND
	;;#ASMSTART
	v_dot2_f32_f16 v38, v47, v43, v38
	;;#ASMEND
	ds_read_b128 v[0:3], v22 offset:16
	ds_read_b128 v[40:43], v21 offset:272
	ds_read_b128 v[44:47], v22 offset:4624
	s_waitcnt lgkmcnt(1)
	;;#ASMSTART
	v_dot2_f32_f16 v16, v0, v40, v16
	;;#ASMEND
	;;#ASMSTART
	v_dot2_f32_f16 v16, v1, v41, v16
	;;#ASMEND
	;;#ASMSTART
	v_dot2_f32_f16 v16, v2, v42, v16
	;;#ASMEND
	;;#ASMSTART
	v_dot2_f32_f16 v16, v3, v43, v16
	;;#ASMEND
	s_waitcnt lgkmcnt(0)
	;;#ASMSTART
	v_dot2_f32_f16 v38, v44, v40, v38
	;;#ASMEND
	;;#ASMSTART
	v_dot2_f32_f16 v38, v45, v41, v38
	;;#ASMEND
	;;#ASMSTART
	v_dot2_f32_f16 v38, v46, v42, v38
	;;#ASMEND
	;;#ASMSTART
	v_dot2_f32_f16 v38, v47, v43, v38
	;;#ASMEND
	ds_read_b128 v[0:3], v22 offset:32
	;; [unrolled: 29-line block ×7, first 2 shown]
	ds_read_b128 v[40:43], v21 offset:368
	ds_read_b128 v[44:47], v22 offset:4720
	s_waitcnt lgkmcnt(1)
	;;#ASMSTART
	v_dot2_f32_f16 v16, v0, v40, v16
	;;#ASMEND
	;;#ASMSTART
	v_dot2_f32_f16 v16, v1, v41, v16
	;;#ASMEND
	;; [unrolled: 3-line block ×4, first 2 shown]
	s_waitcnt lgkmcnt(0)
	;;#ASMSTART
	v_dot2_f32_f16 v38, v44, v40, v38
	;;#ASMEND
	;;#ASMSTART
	v_dot2_f32_f16 v38, v45, v41, v38
	;;#ASMEND
	;; [unrolled: 3-line block ×3, first 2 shown]
	v_cmp_nlt_f32_e64 s[8:9], |v16|, s19
	;;#ASMSTART
	v_dot2_f32_f16 v38, v47, v43, v38
	;;#ASMEND
                                        ; implicit-def: $vgpr2
	s_and_saveexec_b64 s[34:35], s[8:9]
	s_xor_b64 s[8:9], exec, s[34:35]
	s_cbranch_execz .LBB23_13
; %bb.12:                               ;   in Loop: Header=BB23_11 Depth=1
	v_add_f32_e64 v0, |v16|, |v16|
	v_mul_f32_e32 v1, 0x3fb8aa3b, v0
	v_rndne_f32_e32 v2, v1
	v_sub_f32_e32 v3, v1, v2
	v_fma_f32 v1, v0, s28, -v1
	v_fmac_f32_e32 v1, 0x32a5705f, v0
	v_add_f32_e32 v1, v3, v1
	v_cvt_i32_f32_e32 v2, v2
	v_exp_f32_e32 v1, v1
	v_cmp_ngt_f32_e32 vcc, s29, v0
	v_ldexp_f32 v1, v1, v2
	v_cndmask_b32_e32 v1, 0, v1, vcc
	v_cmp_nlt_f32_e32 vcc, s31, v0
	v_cndmask_b32_e32 v0, v33, v1, vcc
	v_add_f32_e32 v0, 1.0, v0
	v_rcp_f32_e32 v0, v0
	v_fma_f32 v2, v0, -2.0, 1.0
.LBB23_13:                              ;   in Loop: Header=BB23_11 Depth=1
	s_andn2_saveexec_b64 s[8:9], s[8:9]
; %bb.14:                               ;   in Loop: Header=BB23_11 Depth=1
	v_mul_f32_e32 v0, v16, v16
	v_mov_b32_e32 v1, 0x3ca908c9
	v_fmac_f32_e32 v1, 0xbbbac73d, v0
	v_fma_f32 v1, v0, v1, v29
	v_fma_f32 v1, v0, v1, v30
	;; [unrolled: 1-line block ×3, first 2 shown]
	v_mul_f32_e64 v1, |v16|, v1
	v_fma_f32 v2, v0, v1, |v16|
; %bb.15:                               ;   in Loop: Header=BB23_11 Depth=1
	s_or_b64 exec, exec, s[8:9]
	v_add_u32_e32 v0, s6, v6
	v_ashrrev_i32_e32 v1, 31, v0
	v_lshlrev_b64 v[0:1], 1, v[0:1]
	v_mov_b32_e32 v3, s27
	v_add_co_u32_e32 v0, vcc, s26, v0
	v_addc_co_u32_e32 v1, vcc, v3, v1, vcc
	flat_load_ushort v3, v[0:1]
	v_cmp_nlt_f32_e64 s[8:9], |v38|, s19
                                        ; implicit-def: $vgpr39
	s_and_saveexec_b64 s[34:35], s[8:9]
	s_xor_b64 s[8:9], exec, s[34:35]
	s_cbranch_execz .LBB23_17
; %bb.16:                               ;   in Loop: Header=BB23_11 Depth=1
	v_add_f32_e64 v39, |v38|, |v38|
	v_mul_f32_e32 v40, 0x3fb8aa3b, v39
	v_rndne_f32_e32 v41, v40
	v_sub_f32_e32 v42, v40, v41
	v_fma_f32 v40, v39, s28, -v40
	v_fmac_f32_e32 v40, 0x32a5705f, v39
	v_add_f32_e32 v40, v42, v40
	v_cvt_i32_f32_e32 v41, v41
	v_exp_f32_e32 v40, v40
	v_cmp_ngt_f32_e32 vcc, s29, v39
	v_ldexp_f32 v40, v40, v41
	v_cndmask_b32_e32 v40, 0, v40, vcc
	v_cmp_nlt_f32_e32 vcc, s31, v39
	v_cndmask_b32_e32 v39, v33, v40, vcc
	v_add_f32_e32 v39, 1.0, v39
	v_rcp_f32_e32 v39, v39
	v_fma_f32 v39, v39, -2.0, 1.0
.LBB23_17:                              ;   in Loop: Header=BB23_11 Depth=1
	s_andn2_saveexec_b64 s[8:9], s[8:9]
; %bb.18:                               ;   in Loop: Header=BB23_11 Depth=1
	v_mul_f32_e32 v39, v38, v38
	v_mov_b32_e32 v40, 0x3ca908c9
	v_fmac_f32_e32 v40, 0xbbbac73d, v39
	v_fma_f32 v40, v39, v40, v29
	v_fma_f32 v40, v39, v40, v30
	;; [unrolled: 1-line block ×3, first 2 shown]
	v_mul_f32_e64 v40, |v38|, v40
	v_fma_f32 v39, v39, v40, |v38|
; %bb.19:                               ;   in Loop: Header=BB23_11 Depth=1
	s_or_b64 exec, exec, s[8:9]
	flat_load_ushort v0, v[0:1] offset:64
	v_bfi_b32 v2, s33, v2, v16
	v_bfi_b32 v16, s33, v39, v38
	s_waitcnt vmcnt(0) lgkmcnt(0)
	v_fma_mix_f32 v2, v2, s14, v3 op_sel_hi:[0,0,1]
	v_add_f32_e32 v3, 0x40051340, v2
	v_xor_b32_e32 v39, 16, v7
	v_xor_b32_e32 v40, 8, v7
	;; [unrolled: 1-line block ×5, first 2 shown]
	s_mul_hi_i32 s9, s6, s18
	s_mul_i32 s8, s6, s18
	s_lshl_b64 s[8:9], s[8:9], 2
	s_add_u32 s8, s12, s8
	s_addc_u32 s9, s13, s9
	s_barrier
	v_add_u32_e32 v62, 0x800, v27
	v_add_u32_e32 v63, 0x1000, v27
	v_fma_mix_f32 v0, v16, s14, v0 op_sel_hi:[0,0,1]
	v_add_f32_e32 v1, 0x40051340, v0
	v_max3_f32 v1, v37, v3, v1
	v_and_b32_e32 v3, 0x60, v7
	v_add_u32_e32 v38, 32, v3
	v_cmp_lt_i32_e32 vcc, v39, v38
	v_cndmask_b32_e32 v3, v7, v39, vcc
	v_lshlrev_b32_e32 v3, 2, v3
	ds_bpermute_b32 v3, v3, v1
	v_cmp_lt_i32_e32 vcc, v40, v38
	s_waitcnt lgkmcnt(0)
	v_max_f32_e32 v3, v3, v3
	v_max_f32_e32 v1, v1, v3
	v_cndmask_b32_e32 v3, v7, v40, vcc
	v_lshlrev_b32_e32 v3, 2, v3
	ds_bpermute_b32 v3, v3, v1
	v_cmp_lt_i32_e32 vcc, v41, v38
	s_waitcnt lgkmcnt(0)
	v_max_f32_e32 v3, v3, v3
	v_max_f32_e32 v1, v1, v3
	;; [unrolled: 7-line block ×4, first 2 shown]
	v_cndmask_b32_e32 v3, v7, v43, vcc
	v_lshlrev_b32_e32 v3, 2, v3
	ds_bpermute_b32 v3, v3, v1
	s_waitcnt lgkmcnt(0)
	v_max_f32_e32 v3, v3, v3
	v_max_f32_e32 v16, v1, v3
	v_sub_f32_e32 v2, v2, v16
	v_mul_f32_e32 v3, 0x3fb8aa3b, v2
	v_sub_f32_e32 v1, v37, v16
	v_fma_f32 v37, v2, s28, -v3
	v_rndne_f32_e32 v44, v3
	v_fmac_f32_e32 v37, 0x32a5705f, v2
	v_sub_f32_e32 v3, v3, v44
	v_add_f32_e32 v3, v3, v37
	v_exp_f32_e32 v3, v3
	v_cvt_i32_f32_e32 v37, v44
	v_sub_f32_e32 v0, v0, v16
	v_cmp_ngt_f32_e32 vcc, s29, v2
	v_ldexp_f32 v3, v3, v37
	v_mul_f32_e32 v37, 0x3fb8aa3b, v0
	v_fma_f32 v44, v0, s28, -v37
	v_rndne_f32_e32 v45, v37
	v_fmac_f32_e32 v44, 0x32a5705f, v0
	v_sub_f32_e32 v37, v37, v45
	v_add_f32_e32 v37, v37, v44
	v_exp_f32_e32 v37, v37
	v_cvt_i32_f32_e32 v44, v45
	v_cndmask_b32_e32 v3, 0, v3, vcc
	v_cmp_nlt_f32_e32 vcc, s31, v2
	v_cndmask_b32_e32 v2, v33, v3, vcc
	v_ldexp_f32 v37, v37, v44
	v_cmp_ngt_f32_e32 vcc, s29, v0
	v_cndmask_b32_e32 v37, 0, v37, vcc
	v_cmp_nlt_f32_e32 vcc, s31, v0
	v_cndmask_b32_e32 v0, v33, v37, vcc
	v_cvt_f16_f32_e32 v3, v2
	v_add_f32_e32 v44, v2, v0
	v_mul_f32_e32 v2, 0x3fb8aa3b, v1
	v_fma_f32 v37, v1, s28, -v2
	v_rndne_f32_e32 v45, v2
	v_fmac_f32_e32 v37, 0x32a5705f, v1
	v_sub_f32_e32 v2, v2, v45
	v_add_f32_e32 v2, v2, v37
	v_exp_f32_e32 v2, v2
	v_cvt_i32_f32_e32 v37, v45
	v_cvt_f16_f32_e32 v0, v0
	v_cmp_ngt_f32_e32 vcc, s29, v1
	ds_write_b16 v24, v3
	ds_write_b16 v24, v0 offset:64
	v_ldexp_f32 v2, v2, v37
	v_cndmask_b32_e32 v2, 0, v2, vcc
	v_cmp_nlt_f32_e32 vcc, s31, v1
	v_cndmask_b32_e32 v1, v33, v2, vcc
	v_fmac_f32_e32 v44, v36, v1
	v_cvt_f16_f32_e32 v36, v1
	v_add_co_u32_e32 v0, vcc, s8, v12
	v_mov_b32_e32 v1, s9
	v_addc_co_u32_e32 v1, vcc, v1, v13, vcc
	v_add_co_u32_e32 v0, vcc, v0, v32
	v_addc_co_u32_e32 v1, vcc, 0, v1, vcc
	global_load_dwordx4 v[0:3], v[0:1], off
	s_waitcnt vmcnt(0)
	ds_write_b128 v25, v[0:3]
	v_add_co_u32_e32 v0, vcc, s8, v14
	v_mov_b32_e32 v1, s9
	v_addc_co_u32_e32 v1, vcc, v1, v15, vcc
	v_add_co_u32_e32 v0, vcc, v0, v32
	v_addc_co_u32_e32 v1, vcc, 0, v1, vcc
	global_load_dwordx4 v[0:3], v[0:1], off
	s_or_b32 s8, s6, 32
	s_mul_hi_i32 s9, s8, s18
	s_mul_i32 s8, s8, s18
	s_lshl_b64 s[8:9], s[8:9], 2
	s_add_u32 s8, s12, s8
	s_addc_u32 s9, s13, s9
	s_waitcnt vmcnt(0)
	ds_write_b128 v26, v[0:3]
	s_waitcnt lgkmcnt(0)
	s_barrier
	ds_read2_b64 v[46:49], v27 offset1:32
	ds_read_b128 v[50:53], v23
	ds_read_b128 v[54:57], v23 offset:16
	ds_read_b128 v[58:61], v23 offset:32
	;; [unrolled: 1-line block ×3, first 2 shown]
	s_waitcnt lgkmcnt(3)
	v_pk_mul_f16 v37, v46, v50 op_sel_hi:[1,0]
	v_pk_fma_f16 v34, v34, v36, v37 op_sel_hi:[1,0,1]
	v_pk_mul_f16 v37, v47, v50 op_sel_hi:[1,0]
	v_pk_fma_f16 v35, v35, v36, v37 op_sel_hi:[1,0,1]
	v_pk_fma_f16 v45, v48, v50, v34 op_sel:[0,1,0]
	v_pk_fma_f16 v46, v49, v50, v35 op_sel:[0,1,0]
	ds_read2_b64 v[34:37], v27 offset0:64 offset1:96
	s_waitcnt lgkmcnt(0)
	v_pk_fma_f16 v34, v34, v51, v45 op_sel_hi:[1,0,1]
	v_pk_fma_f16 v35, v35, v51, v46 op_sel_hi:[1,0,1]
	v_pk_fma_f16 v45, v36, v51, v34 op_sel:[0,1,0]
	v_pk_fma_f16 v46, v37, v51, v35 op_sel:[0,1,0]
	ds_read2_b64 v[34:37], v27 offset0:128 offset1:160
	s_waitcnt lgkmcnt(0)
	v_pk_fma_f16 v34, v34, v52, v45 op_sel_hi:[1,0,1]
	;; [unrolled: 6-line block ×3, first 2 shown]
	v_pk_fma_f16 v35, v35, v53, v46 op_sel_hi:[1,0,1]
	v_pk_fma_f16 v45, v36, v53, v34 op_sel:[0,1,0]
	v_pk_fma_f16 v46, v37, v53, v35 op_sel:[0,1,0]
	ds_read2_b64 v[34:37], v62 offset1:32
	s_waitcnt lgkmcnt(0)
	v_pk_fma_f16 v34, v34, v54, v45 op_sel_hi:[1,0,1]
	v_pk_fma_f16 v35, v35, v54, v46 op_sel_hi:[1,0,1]
	v_pk_fma_f16 v45, v36, v54, v34 op_sel:[0,1,0]
	v_pk_fma_f16 v46, v37, v54, v35 op_sel:[0,1,0]
	ds_read2_b64 v[34:37], v62 offset0:64 offset1:96
	s_waitcnt lgkmcnt(0)
	v_pk_fma_f16 v34, v34, v55, v45 op_sel_hi:[1,0,1]
	v_pk_fma_f16 v35, v35, v55, v46 op_sel_hi:[1,0,1]
	v_pk_fma_f16 v45, v36, v55, v34 op_sel:[0,1,0]
	v_pk_fma_f16 v46, v37, v55, v35 op_sel:[0,1,0]
	ds_read2_b64 v[34:37], v62 offset0:128 offset1:160
	;; [unrolled: 6-line block ×3, first 2 shown]
	s_waitcnt lgkmcnt(0)
	v_pk_fma_f16 v34, v34, v57, v45 op_sel_hi:[1,0,1]
	v_pk_fma_f16 v35, v35, v57, v46 op_sel_hi:[1,0,1]
	v_pk_fma_f16 v45, v36, v57, v34 op_sel:[0,1,0]
	v_pk_fma_f16 v46, v37, v57, v35 op_sel:[0,1,0]
	ds_read2_b64 v[34:37], v63 offset1:32
	s_waitcnt lgkmcnt(0)
	v_pk_fma_f16 v34, v34, v58, v45 op_sel_hi:[1,0,1]
	v_pk_fma_f16 v35, v35, v58, v46 op_sel_hi:[1,0,1]
	v_pk_fma_f16 v45, v36, v58, v34 op_sel:[0,1,0]
	v_pk_fma_f16 v46, v37, v58, v35 op_sel:[0,1,0]
	ds_read2_b64 v[34:37], v63 offset0:64 offset1:96
	v_add_u32_e32 v58, 0x1800, v27
	s_waitcnt lgkmcnt(0)
	v_pk_fma_f16 v34, v34, v59, v45 op_sel_hi:[1,0,1]
	v_pk_fma_f16 v35, v35, v59, v46 op_sel_hi:[1,0,1]
	v_pk_fma_f16 v45, v36, v59, v34 op_sel:[0,1,0]
	v_pk_fma_f16 v46, v37, v59, v35 op_sel:[0,1,0]
	ds_read2_b64 v[34:37], v63 offset0:128 offset1:160
	s_waitcnt lgkmcnt(0)
	v_pk_fma_f16 v34, v34, v60, v45 op_sel_hi:[1,0,1]
	v_pk_fma_f16 v35, v35, v60, v46 op_sel_hi:[1,0,1]
	v_pk_fma_f16 v45, v36, v60, v34 op_sel:[0,1,0]
	v_pk_fma_f16 v46, v37, v60, v35 op_sel:[0,1,0]
	ds_read2_b64 v[34:37], v63 offset0:192 offset1:224
	s_waitcnt lgkmcnt(0)
	v_pk_fma_f16 v34, v34, v61, v45 op_sel_hi:[1,0,1]
	v_pk_fma_f16 v35, v35, v61, v46 op_sel_hi:[1,0,1]
	v_pk_fma_f16 v45, v36, v61, v34 op_sel:[0,1,0]
	v_pk_fma_f16 v46, v37, v61, v35 op_sel:[0,1,0]
	ds_read2_b64 v[34:37], v58 offset1:32
	s_waitcnt lgkmcnt(0)
	v_pk_fma_f16 v34, v34, v0, v45 op_sel_hi:[1,0,1]
	v_pk_fma_f16 v35, v35, v0, v46 op_sel_hi:[1,0,1]
	v_pk_fma_f16 v45, v36, v0, v34 op_sel:[0,1,0]
	v_pk_fma_f16 v0, v37, v0, v35 op_sel:[0,1,0]
	ds_read2_b64 v[34:37], v58 offset0:64 offset1:96
	s_waitcnt lgkmcnt(0)
	v_pk_fma_f16 v34, v34, v1, v45 op_sel_hi:[1,0,1]
	v_pk_fma_f16 v0, v35, v1, v0 op_sel_hi:[1,0,1]
	v_pk_fma_f16 v45, v36, v1, v34 op_sel:[0,1,0]
	v_pk_fma_f16 v0, v37, v1, v0 op_sel:[0,1,0]
	ds_read2_b64 v[34:37], v58 offset0:128 offset1:160
	;; [unrolled: 6-line block ×3, first 2 shown]
	s_waitcnt lgkmcnt(0)
	s_barrier
	v_pk_fma_f16 v1, v34, v3, v1 op_sel_hi:[1,0,1]
	v_pk_fma_f16 v0, v35, v3, v0 op_sel_hi:[1,0,1]
	v_pk_fma_f16 v45, v36, v3, v1 op_sel:[0,1,0]
	v_pk_fma_f16 v59, v37, v3, v0 op_sel:[0,1,0]
	v_add_co_u32_e32 v0, vcc, s8, v12
	v_mov_b32_e32 v1, s9
	v_addc_co_u32_e32 v1, vcc, v1, v13, vcc
	v_add_co_u32_e32 v0, vcc, v0, v32
	v_addc_co_u32_e32 v1, vcc, 0, v1, vcc
	global_load_dwordx4 v[0:3], v[0:1], off
	s_waitcnt vmcnt(0)
	ds_write_b128 v25, v[0:3]
	v_add_co_u32_e32 v0, vcc, s8, v14
	v_mov_b32_e32 v1, s9
	v_addc_co_u32_e32 v1, vcc, v1, v15, vcc
	v_add_co_u32_e32 v0, vcc, v0, v32
	v_addc_co_u32_e32 v1, vcc, 0, v1, vcc
	global_load_dwordx4 v[0:3], v[0:1], off
	s_waitcnt vmcnt(0)
	ds_write_b128 v26, v[0:3]
	s_waitcnt lgkmcnt(0)
	s_barrier
	ds_read2_b64 v[0:3], v27 offset1:32
	ds_read_b128 v[34:37], v23 offset:64
	ds_read_b128 v[46:49], v23 offset:80
	;; [unrolled: 1-line block ×4, first 2 shown]
	s_waitcnt lgkmcnt(3)
	v_pk_fma_f16 v0, v0, v34, v45 op_sel_hi:[1,0,1]
	v_pk_fma_f16 v1, v1, v34, v59 op_sel_hi:[1,0,1]
	v_pk_fma_f16 v45, v2, v34, v0 op_sel:[0,1,0]
	v_pk_fma_f16 v34, v3, v34, v1 op_sel:[0,1,0]
	ds_read2_b64 v[0:3], v27 offset0:64 offset1:96
	s_waitcnt lgkmcnt(0)
	v_pk_fma_f16 v0, v0, v35, v45 op_sel_hi:[1,0,1]
	v_pk_fma_f16 v1, v1, v35, v34 op_sel_hi:[1,0,1]
	v_pk_fma_f16 v34, v2, v35, v0 op_sel:[0,1,0]
	v_pk_fma_f16 v35, v3, v35, v1 op_sel:[0,1,0]
	ds_read2_b64 v[0:3], v27 offset0:128 offset1:160
	s_waitcnt lgkmcnt(0)
	v_pk_fma_f16 v0, v0, v36, v34 op_sel_hi:[1,0,1]
	v_pk_fma_f16 v1, v1, v36, v35 op_sel_hi:[1,0,1]
	v_pk_fma_f16 v34, v2, v36, v0 op_sel:[0,1,0]
	v_pk_fma_f16 v35, v3, v36, v1 op_sel:[0,1,0]
	ds_read2_b64 v[0:3], v27 offset0:192 offset1:224
	s_waitcnt lgkmcnt(0)
	v_pk_fma_f16 v0, v0, v37, v34 op_sel_hi:[1,0,1]
	v_pk_fma_f16 v1, v1, v37, v35 op_sel_hi:[1,0,1]
	v_pk_fma_f16 v34, v2, v37, v0 op_sel:[0,1,0]
	v_pk_fma_f16 v35, v3, v37, v1 op_sel:[0,1,0]
	ds_read2_b64 v[0:3], v62 offset1:32
	s_waitcnt lgkmcnt(0)
	v_pk_fma_f16 v0, v0, v46, v34 op_sel_hi:[1,0,1]
	v_pk_fma_f16 v1, v1, v46, v35 op_sel_hi:[1,0,1]
	v_pk_fma_f16 v34, v2, v46, v0 op_sel:[0,1,0]
	v_pk_fma_f16 v35, v3, v46, v1 op_sel:[0,1,0]
	ds_read2_b64 v[0:3], v62 offset0:64 offset1:96
	s_waitcnt lgkmcnt(0)
	v_pk_fma_f16 v0, v0, v47, v34 op_sel_hi:[1,0,1]
	v_pk_fma_f16 v1, v1, v47, v35 op_sel_hi:[1,0,1]
	v_pk_fma_f16 v34, v2, v47, v0 op_sel:[0,1,0]
	v_pk_fma_f16 v35, v3, v47, v1 op_sel:[0,1,0]
	ds_read2_b64 v[0:3], v62 offset0:128 offset1:160
	s_waitcnt lgkmcnt(0)
	v_pk_fma_f16 v0, v0, v48, v34 op_sel_hi:[1,0,1]
	v_pk_fma_f16 v1, v1, v48, v35 op_sel_hi:[1,0,1]
	v_pk_fma_f16 v34, v2, v48, v0 op_sel:[0,1,0]
	v_pk_fma_f16 v35, v3, v48, v1 op_sel:[0,1,0]
	ds_read2_b64 v[0:3], v62 offset0:192 offset1:224
	s_waitcnt lgkmcnt(0)
	v_pk_fma_f16 v0, v0, v49, v34 op_sel_hi:[1,0,1]
	v_pk_fma_f16 v1, v1, v49, v35 op_sel_hi:[1,0,1]
	v_pk_fma_f16 v34, v2, v49, v0 op_sel:[0,1,0]
	v_pk_fma_f16 v35, v3, v49, v1 op_sel:[0,1,0]
	ds_read2_b64 v[0:3], v63 offset1:32
	;; [unrolled: 24-line block ×3, first 2 shown]
	s_waitcnt lgkmcnt(0)
	v_pk_fma_f16 v0, v0, v54, v34 op_sel_hi:[1,0,1]
	v_pk_fma_f16 v1, v1, v54, v35 op_sel_hi:[1,0,1]
	v_pk_fma_f16 v34, v2, v54, v0 op_sel:[0,1,0]
	v_pk_fma_f16 v35, v3, v54, v1 op_sel:[0,1,0]
	ds_read2_b64 v[0:3], v58 offset0:64 offset1:96
	s_waitcnt lgkmcnt(0)
	v_pk_fma_f16 v0, v0, v55, v34 op_sel_hi:[1,0,1]
	v_pk_fma_f16 v1, v1, v55, v35 op_sel_hi:[1,0,1]
	v_pk_fma_f16 v34, v2, v55, v0 op_sel:[0,1,0]
	v_pk_fma_f16 v35, v3, v55, v1 op_sel:[0,1,0]
	ds_read2_b64 v[0:3], v58 offset0:128 offset1:160
	;; [unrolled: 6-line block ×3, first 2 shown]
	s_waitcnt lgkmcnt(0)
	s_barrier
	s_load_dword s8, s[0:1], 0x4
	v_pk_fma_f16 v0, v0, v57, v34 op_sel_hi:[1,0,1]
	v_pk_fma_f16 v1, v1, v57, v35 op_sel_hi:[1,0,1]
	v_pk_fma_f16 v34, v2, v57, v0 op_sel:[0,1,0]
	v_pk_fma_f16 v35, v3, v57, v1 op_sel:[0,1,0]
	s_waitcnt lgkmcnt(0)
	s_lshl_b32 s8, s8, 6
	s_add_i32 s6, s8, s6
	s_cmp_lt_i32 s6, s24
	s_cbranch_scc0 .LBB23_21
; %bb.20:                               ;   in Loop: Header=BB23_11 Depth=1
	v_mov_b32_e32 v37, v16
	v_mov_b32_e32 v36, v44
	s_branch .LBB23_11
.LBB23_21:
	v_cmp_lt_i32_e32 vcc, v39, v38
	v_cndmask_b32_e32 v0, v7, v39, vcc
	v_lshlrev_b32_e32 v0, 2, v0
	ds_bpermute_b32 v0, v0, v44
	v_cmp_lt_i32_e32 vcc, v40, v38
	v_cndmask_b32_e32 v1, v7, v40, vcc
	v_lshlrev_b32_e32 v1, 2, v1
	v_cmp_lt_i32_e32 vcc, v41, v38
	s_waitcnt lgkmcnt(0)
	v_add_f32_e32 v0, v44, v0
	ds_bpermute_b32 v1, v1, v0
	v_cndmask_b32_e32 v2, v7, v41, vcc
	v_lshlrev_b32_e32 v2, 2, v2
	v_cmp_lt_i32_e32 vcc, v42, v38
	s_cmp_eq_u64 s[16:17], 0
	s_waitcnt lgkmcnt(0)
	v_add_f32_e32 v0, v0, v1
	ds_bpermute_b32 v1, v2, v0
	v_cndmask_b32_e32 v2, v7, v42, vcc
	v_lshlrev_b32_e32 v2, 2, v2
	v_cmp_lt_i32_e32 vcc, v43, v38
	v_cndmask_b32_e32 v3, v7, v43, vcc
	s_waitcnt lgkmcnt(0)
	v_add_f32_e32 v1, v0, v1
	ds_bpermute_b32 v2, v2, v1
	v_lshlrev_b32_e32 v3, 2, v3
	s_cselect_b64 s[0:1], -1, 0
	s_cmp_lg_u32 s7, 0
	s_cselect_b64 s[8:9], -1, 0
	s_waitcnt lgkmcnt(0)
	v_add_f32_e32 v1, v1, v2
	ds_bpermute_b32 v2, v3, v1
	s_or_b64 s[0:1], s[8:9], s[0:1]
	v_add_u32_e32 v0, s25, v17
	s_and_b64 vcc, exec, s[0:1]
	s_waitcnt lgkmcnt(0)
	v_add_f32_e32 v17, v1, v2
	s_cbranch_vccnz .LBB23_23
; %bb.22:
	v_ashrrev_i32_e32 v1, 31, v0
	v_lshlrev_b64 v[2:3], 2, v[0:1]
	v_mov_b32_e32 v1, s17
	v_add_co_u32_e32 v2, vcc, s16, v2
	v_addc_co_u32_e32 v3, vcc, v1, v3, vcc
	global_load_dword v1, v[2:3], off
	v_max_f32_e32 v2, v16, v16
	s_mov_b32 s0, 0x3fb8aa3b
	s_mov_b32 s1, 0xc2ce8ed0
	s_waitcnt vmcnt(0)
	v_max_f32_e32 v3, v1, v1
	v_max_f32_e32 v2, v2, v3
	v_sub_f32_e32 v3, v16, v2
	v_sub_f32_e32 v1, v1, v2
	v_mul_f32_e32 v6, 0x3fb8aa3b, v3
	v_mul_f32_e32 v7, 0x3fb8aa3b, v1
	v_fma_f32 v8, v3, s0, -v6
	v_rndne_f32_e32 v9, v6
	v_fma_f32 v10, v1, s0, -v7
	v_rndne_f32_e32 v11, v7
	v_fmac_f32_e32 v8, 0x32a5705f, v3
	v_sub_f32_e32 v6, v6, v9
	v_fmac_f32_e32 v10, 0x32a5705f, v1
	v_sub_f32_e32 v7, v7, v11
	v_add_f32_e32 v6, v6, v8
	v_cvt_i32_f32_e32 v9, v9
	v_add_f32_e32 v7, v7, v10
	v_exp_f32_e32 v6, v6
	v_cvt_i32_f32_e32 v11, v11
	v_exp_f32_e32 v7, v7
	v_cmp_ngt_f32_e32 vcc, s1, v3
	v_ldexp_f32 v6, v6, v9
	s_mov_b32 s0, 0x42b17218
	v_ldexp_f32 v7, v7, v11
	v_cndmask_b32_e32 v6, 0, v6, vcc
	v_cmp_ngt_f32_e32 vcc, s1, v1
	v_mov_b32_e32 v8, 0x7f800000
	v_cndmask_b32_e32 v7, 0, v7, vcc
	v_cmp_nlt_f32_e32 vcc, s0, v3
	v_cndmask_b32_e32 v6, v8, v6, vcc
	v_cvt_f16_f32_e32 v9, v6
	v_cmp_nlt_f32_e32 vcc, s0, v1
	v_cndmask_b32_e32 v3, v8, v7, vcc
	v_fmac_f32_e32 v3, v17, v6
	v_pk_mul_f16 v34, v9, v34 op_sel_hi:[0,1]
	v_pk_mul_f16 v35, v9, v35 op_sel_hi:[0,1]
	v_pk_mov_b32 v[16:17], v[2:3], v[2:3] op_sel:[0,1]
	s_branch .LBB23_24
.LBB23_23:
	v_mov_b32_e32 v3, v17
.LBB23_24:
	v_div_scale_f32 v1, s[0:1], v3, v3, 1.0
	v_rcp_f32_e32 v2, v1
	s_load_dword s4, s[4:5], 0xd4
	s_mul_i32 s30, s30, s2
	v_cvt_f32_f16_sdwa v9, v34 dst_sel:DWORD dst_unused:UNUSED_PAD src0_sel:WORD_1
	v_fma_f32 v6, -v1, v2, 1.0
	v_fmac_f32_e32 v2, v6, v2
	v_div_scale_f32 v6, vcc, 1.0, v3, 1.0
	v_mul_f32_e32 v7, v6, v2
	v_fma_f32 v8, -v1, v7, v6
	v_fmac_f32_e32 v7, v8, v2
	v_fma_f32 v1, -v1, v7, v6
	s_waitcnt lgkmcnt(0)
	s_cmp_lg_u32 s4, 1
	v_div_fmas_f32 v1, v1, v2, v7
	v_div_fixup_f32 v1, v1, v3, 1.0
	s_cselect_b64 s[0:1], -1, 0
	v_cndmask_b32_e64 v2, v1, 1.0, s[0:1]
	v_add_u32_e32 v1, s30, v5
	v_mad_u64_u32 v[0:1], s[2:3], v1, s3, v[0:1]
	v_mul_lo_u32 v0, s4, v0
	v_add_u32_e32 v0, s7, v0
	v_lshl_add_u32 v6, v0, 7, v18
	v_mov_b32_e32 v7, 0
	v_lshlrev_b64 v[6:7], 2, v[6:7]
	v_cvt_f32_f16_e32 v8, v34
	v_cvt_f32_f16_sdwa v11, v35 dst_sel:DWORD dst_unused:UNUSED_PAD src0_sel:WORD_1
	v_cvt_f32_f16_e32 v10, v35
	v_mov_b32_e32 v1, s21
	v_add_co_u32_e32 v12, vcc, s20, v6
	v_addc_co_u32_e32 v13, vcc, v1, v7, vcc
	v_cmp_eq_u32_e32 vcc, 0, v4
	v_pk_mul_f32 v[6:7], v[2:3], v[8:9] op_sel_hi:[0,1]
	v_pk_mul_f32 v[8:9], v[2:3], v[10:11] op_sel_hi:[0,1]
	s_and_b64 s[0:1], vcc, s[0:1]
	global_store_dwordx4 v[12:13], v[6:9], off
	s_and_saveexec_b64 s[2:3], s[0:1]
	s_cbranch_execz .LBB23_26
; %bb.25:
	v_ashrrev_i32_e32 v1, 31, v0
	v_lshlrev_b64 v[0:1], 3, v[0:1]
	v_mov_b32_e32 v2, s23
	v_add_co_u32_e32 v0, vcc, s22, v0
	v_addc_co_u32_e32 v1, vcc, v2, v1, vcc
	global_store_dwordx2 v[0:1], v[16:17], off
.LBB23_26:
	s_endpgm
	.section	.rodata,"a",@progbits
	.p2align	6, 0x0
	.amdhsa_kernel _ZL15flash_attn_tileILi192ELi128ELi1ELi8ELb1EEvPKcS1_S1_S1_S1_PKiPfP15HIP_vector_typeIfLj2EEffffjfiS5_IjLj3EEiiiiiiiiiiiliiliiiiil
		.amdhsa_group_segment_fixed_size 13312
		.amdhsa_private_segment_fixed_size 0
		.amdhsa_kernarg_size 464
		.amdhsa_user_sgpr_count 6
		.amdhsa_user_sgpr_private_segment_buffer 1
		.amdhsa_user_sgpr_dispatch_ptr 0
		.amdhsa_user_sgpr_queue_ptr 0
		.amdhsa_user_sgpr_kernarg_segment_ptr 1
		.amdhsa_user_sgpr_dispatch_id 0
		.amdhsa_user_sgpr_flat_scratch_init 0
		.amdhsa_user_sgpr_kernarg_preload_length 0
		.amdhsa_user_sgpr_kernarg_preload_offset 0
		.amdhsa_user_sgpr_private_segment_size 0
		.amdhsa_uses_dynamic_stack 0
		.amdhsa_system_sgpr_private_segment_wavefront_offset 0
		.amdhsa_system_sgpr_workgroup_id_x 1
		.amdhsa_system_sgpr_workgroup_id_y 1
		.amdhsa_system_sgpr_workgroup_id_z 1
		.amdhsa_system_sgpr_workgroup_info 0
		.amdhsa_system_vgpr_workitem_id 1
		.amdhsa_next_free_vgpr 64
		.amdhsa_next_free_sgpr 40
		.amdhsa_accum_offset 64
		.amdhsa_reserve_vcc 1
		.amdhsa_reserve_flat_scratch 0
		.amdhsa_float_round_mode_32 0
		.amdhsa_float_round_mode_16_64 0
		.amdhsa_float_denorm_mode_32 3
		.amdhsa_float_denorm_mode_16_64 3
		.amdhsa_dx10_clamp 1
		.amdhsa_ieee_mode 1
		.amdhsa_fp16_overflow 0
		.amdhsa_tg_split 0
		.amdhsa_exception_fp_ieee_invalid_op 0
		.amdhsa_exception_fp_denorm_src 0
		.amdhsa_exception_fp_ieee_div_zero 0
		.amdhsa_exception_fp_ieee_overflow 0
		.amdhsa_exception_fp_ieee_underflow 0
		.amdhsa_exception_fp_ieee_inexact 0
		.amdhsa_exception_int_div_zero 0
	.end_amdhsa_kernel
	.section	.text._ZL15flash_attn_tileILi192ELi128ELi1ELi8ELb1EEvPKcS1_S1_S1_S1_PKiPfP15HIP_vector_typeIfLj2EEffffjfiS5_IjLj3EEiiiiiiiiiiiliiliiiiil,"axG",@progbits,_ZL15flash_attn_tileILi192ELi128ELi1ELi8ELb1EEvPKcS1_S1_S1_S1_PKiPfP15HIP_vector_typeIfLj2EEffffjfiS5_IjLj3EEiiiiiiiiiiiliiliiiiil,comdat
.Lfunc_end23:
	.size	_ZL15flash_attn_tileILi192ELi128ELi1ELi8ELb1EEvPKcS1_S1_S1_S1_PKiPfP15HIP_vector_typeIfLj2EEffffjfiS5_IjLj3EEiiiiiiiiiiiliiliiiiil, .Lfunc_end23-_ZL15flash_attn_tileILi192ELi128ELi1ELi8ELb1EEvPKcS1_S1_S1_S1_PKiPfP15HIP_vector_typeIfLj2EEffffjfiS5_IjLj3EEiiiiiiiiiiiliiliiiiil
                                        ; -- End function
	.section	.AMDGPU.csdata,"",@progbits
; Kernel info:
; codeLenInByte = 7528
; NumSgprs: 44
; NumVgprs: 64
; NumAgprs: 0
; TotalNumVgprs: 64
; ScratchSize: 0
; MemoryBound: 0
; FloatMode: 240
; IeeeMode: 1
; LDSByteSize: 13312 bytes/workgroup (compile time only)
; SGPRBlocks: 5
; VGPRBlocks: 7
; NumSGPRsForWavesPerEU: 44
; NumVGPRsForWavesPerEU: 64
; AccumOffset: 64
; Occupancy: 4
; WaveLimiterHint : 1
; COMPUTE_PGM_RSRC2:SCRATCH_EN: 0
; COMPUTE_PGM_RSRC2:USER_SGPR: 6
; COMPUTE_PGM_RSRC2:TRAP_HANDLER: 0
; COMPUTE_PGM_RSRC2:TGID_X_EN: 1
; COMPUTE_PGM_RSRC2:TGID_Y_EN: 1
; COMPUTE_PGM_RSRC2:TGID_Z_EN: 1
; COMPUTE_PGM_RSRC2:TIDIG_COMP_CNT: 1
; COMPUTE_PGM_RSRC3_GFX90A:ACCUM_OFFSET: 15
; COMPUTE_PGM_RSRC3_GFX90A:TG_SPLIT: 0
	.text
	.p2alignl 6, 3212836864
	.fill 256, 4, 3212836864
	.type	__hip_cuid_d71dd4ba0035ea07,@object ; @__hip_cuid_d71dd4ba0035ea07
	.section	.bss,"aw",@nobits
	.globl	__hip_cuid_d71dd4ba0035ea07
__hip_cuid_d71dd4ba0035ea07:
	.byte	0                               ; 0x0
	.size	__hip_cuid_d71dd4ba0035ea07, 1

	.ident	"AMD clang version 19.0.0git (https://github.com/RadeonOpenCompute/llvm-project roc-6.4.0 25133 c7fe45cf4b819c5991fe208aaa96edf142730f1d)"
	.section	".note.GNU-stack","",@progbits
	.addrsig
	.addrsig_sym __hip_cuid_d71dd4ba0035ea07
	.amdgpu_metadata
---
amdhsa.kernels:
  - .agpr_count:     0
    .args:
      - .address_space:  global
        .offset:         0
        .size:           8
        .value_kind:     global_buffer
      - .address_space:  global
        .offset:         8
        .size:           8
        .value_kind:     global_buffer
      - .address_space:  global
        .offset:         16
        .size:           8
        .value_kind:     global_buffer
      - .address_space:  global
        .offset:         24
        .size:           8
        .value_kind:     global_buffer
      - .address_space:  global
        .offset:         32
        .size:           8
        .value_kind:     global_buffer
      - .address_space:  global
        .offset:         40
        .size:           8
        .value_kind:     global_buffer
      - .address_space:  global
        .offset:         48
        .size:           8
        .value_kind:     global_buffer
      - .address_space:  global
        .offset:         56
        .size:           8
        .value_kind:     global_buffer
      - .offset:         64
        .size:           4
        .value_kind:     by_value
      - .offset:         68
        .size:           4
        .value_kind:     by_value
      - .offset:         72
        .size:           4
        .value_kind:     by_value
      - .offset:         76
        .size:           4
        .value_kind:     by_value
      - .offset:         80
        .size:           4
        .value_kind:     by_value
      - .offset:         84
        .size:           4
        .value_kind:     by_value
      - .offset:         88
        .size:           4
        .value_kind:     by_value
      - .offset:         92
        .size:           12
        .value_kind:     by_value
      - .offset:         104
        .size:           4
        .value_kind:     by_value
      - .offset:         108
        .size:           4
        .value_kind:     by_value
      - .offset:         112
        .size:           4
        .value_kind:     by_value
      - .offset:         116
        .size:           4
        .value_kind:     by_value
      - .offset:         120
        .size:           4
        .value_kind:     by_value
      - .offset:         124
        .size:           4
        .value_kind:     by_value
      - .offset:         128
        .size:           4
        .value_kind:     by_value
      - .offset:         132
        .size:           4
        .value_kind:     by_value
      - .offset:         136
        .size:           4
        .value_kind:     by_value
      - .offset:         140
        .size:           4
        .value_kind:     by_value
      - .offset:         144
        .size:           4
        .value_kind:     by_value
      - .offset:         152
        .size:           8
        .value_kind:     by_value
      - .offset:         160
        .size:           4
        .value_kind:     by_value
      - .offset:         164
        .size:           4
        .value_kind:     by_value
      - .offset:         168
        .size:           8
        .value_kind:     by_value
      - .offset:         176
        .size:           4
        .value_kind:     by_value
      - .offset:         180
        .size:           4
        .value_kind:     by_value
      - .offset:         184
        .size:           4
        .value_kind:     by_value
      - .offset:         188
        .size:           4
        .value_kind:     by_value
      - .offset:         192
        .size:           4
        .value_kind:     by_value
      - .offset:         200
        .size:           8
        .value_kind:     by_value
      - .offset:         208
        .size:           4
        .value_kind:     hidden_block_count_x
      - .offset:         212
        .size:           4
        .value_kind:     hidden_block_count_y
      - .offset:         216
        .size:           4
        .value_kind:     hidden_block_count_z
      - .offset:         220
        .size:           2
        .value_kind:     hidden_group_size_x
      - .offset:         222
        .size:           2
        .value_kind:     hidden_group_size_y
      - .offset:         224
        .size:           2
        .value_kind:     hidden_group_size_z
      - .offset:         226
        .size:           2
        .value_kind:     hidden_remainder_x
      - .offset:         228
        .size:           2
        .value_kind:     hidden_remainder_y
      - .offset:         230
        .size:           2
        .value_kind:     hidden_remainder_z
      - .offset:         248
        .size:           8
        .value_kind:     hidden_global_offset_x
      - .offset:         256
        .size:           8
        .value_kind:     hidden_global_offset_y
      - .offset:         264
        .size:           8
        .value_kind:     hidden_global_offset_z
      - .offset:         272
        .size:           2
        .value_kind:     hidden_grid_dims
    .group_segment_fixed_size: 18944
    .kernarg_segment_align: 8
    .kernarg_segment_size: 464
    .language:       OpenCL C
    .language_version:
      - 2
      - 0
    .max_flat_workgroup_size: 256
    .name:           _ZL15flash_attn_tileILi192ELi128ELi2ELi16ELb0EEvPKcS1_S1_S1_S1_PKiPfP15HIP_vector_typeIfLj2EEffffjfiS5_IjLj3EEiiiiiiiiiiiliiliiiiil
    .private_segment_fixed_size: 0
    .sgpr_count:     45
    .sgpr_spill_count: 0
    .symbol:         _ZL15flash_attn_tileILi192ELi128ELi2ELi16ELb0EEvPKcS1_S1_S1_S1_PKiPfP15HIP_vector_typeIfLj2EEffffjfiS5_IjLj3EEiiiiiiiiiiiliiliiiiil.kd
    .uniform_work_group_size: 1
    .uses_dynamic_stack: false
    .vgpr_count:     117
    .vgpr_spill_count: 0
    .wavefront_size: 64
  - .agpr_count:     0
    .args:
      - .actual_access:  read_only
        .address_space:  global
        .offset:         0
        .size:           8
        .value_kind:     global_buffer
      - .actual_access:  write_only
        .address_space:  global
        .offset:         8
        .size:           8
        .value_kind:     global_buffer
      - .offset:         16
        .size:           4
        .value_kind:     by_value
      - .offset:         20
        .size:           4
        .value_kind:     by_value
      - .offset:         24
        .size:           4
        .value_kind:     by_value
      - .offset:         32
        .size:           4
        .value_kind:     hidden_block_count_x
      - .offset:         36
        .size:           4
        .value_kind:     hidden_block_count_y
      - .offset:         40
        .size:           4
        .value_kind:     hidden_block_count_z
      - .offset:         44
        .size:           2
        .value_kind:     hidden_group_size_x
      - .offset:         46
        .size:           2
        .value_kind:     hidden_group_size_y
      - .offset:         48
        .size:           2
        .value_kind:     hidden_group_size_z
      - .offset:         50
        .size:           2
        .value_kind:     hidden_remainder_x
      - .offset:         52
        .size:           2
        .value_kind:     hidden_remainder_y
      - .offset:         54
        .size:           2
        .value_kind:     hidden_remainder_z
      - .offset:         72
        .size:           8
        .value_kind:     hidden_global_offset_x
      - .offset:         80
        .size:           8
        .value_kind:     hidden_global_offset_y
      - .offset:         88
        .size:           8
        .value_kind:     hidden_global_offset_z
      - .offset:         96
        .size:           2
        .value_kind:     hidden_grid_dims
    .group_segment_fixed_size: 128
    .kernarg_segment_align: 8
    .kernarg_segment_size: 288
    .language:       OpenCL C
    .language_version:
      - 2
      - 0
    .max_flat_workgroup_size: 128
    .name:           _ZL25flash_attn_mask_to_KV_maxILi2EEvPK7__half2Piiii
    .private_segment_fixed_size: 0
    .sgpr_count:     30
    .sgpr_spill_count: 0
    .symbol:         _ZL25flash_attn_mask_to_KV_maxILi2EEvPK7__half2Piiii.kd
    .uniform_work_group_size: 1
    .uses_dynamic_stack: false
    .vgpr_count:     17
    .vgpr_spill_count: 0
    .wavefront_size: 64
  - .agpr_count:     0
    .args:
      - .address_space:  global
        .offset:         0
        .size:           8
        .value_kind:     global_buffer
      - .address_space:  global
        .offset:         8
        .size:           8
        .value_kind:     global_buffer
      - .offset:         16
        .size:           4
        .value_kind:     by_value
      - .offset:         20
        .size:           4
        .value_kind:     by_value
      - .offset:         24
        .size:           4
        .value_kind:     by_value
      - .offset:         28
        .size:           4
        .value_kind:     by_value
      - .offset:         32
        .size:           4
        .value_kind:     by_value
      - .offset:         36
        .size:           4
        .value_kind:     by_value
      - .offset:         40
        .size:           12
        .value_kind:     by_value
      - .offset:         52
        .size:           12
        .value_kind:     by_value
      - .offset:         64
        .size:           12
        .value_kind:     by_value
    .group_segment_fixed_size: 0
    .kernarg_segment_align: 8
    .kernarg_segment_size: 76
    .language:       OpenCL C
    .language_version:
      - 2
      - 0
    .max_flat_workgroup_size: 128
    .name:           _ZL33flash_attn_stream_k_fixup_uniformILi128ELi2ELi16EEvPfPK15HIP_vector_typeIfLj2EEiiiiiiS1_IjLj3EES5_S5_
    .private_segment_fixed_size: 0
    .sgpr_count:     24
    .sgpr_spill_count: 0
    .symbol:         _ZL33flash_attn_stream_k_fixup_uniformILi128ELi2ELi16EEvPfPK15HIP_vector_typeIfLj2EEiiiiiiS1_IjLj3EES5_S5_.kd
    .uniform_work_group_size: 1
    .uses_dynamic_stack: false
    .vgpr_count:     17
    .vgpr_spill_count: 0
    .wavefront_size: 64
  - .agpr_count:     0
    .args:
      - .address_space:  global
        .offset:         0
        .size:           8
        .value_kind:     global_buffer
      - .address_space:  global
        .offset:         8
        .size:           8
        .value_kind:     global_buffer
      - .offset:         16
        .size:           4
        .value_kind:     by_value
      - .offset:         20
        .size:           4
        .value_kind:     by_value
      - .offset:         24
        .size:           4
        .value_kind:     by_value
      - .offset:         28
        .size:           4
        .value_kind:     by_value
      - .offset:         32
        .size:           12
        .value_kind:     by_value
      - .offset:         44
        .size:           12
        .value_kind:     by_value
      - .offset:         56
        .size:           12
        .value_kind:     by_value
      - .offset:         68
        .size:           12
        .value_kind:     by_value
      - .offset:         80
        .size:           4
        .value_kind:     hidden_block_count_x
      - .offset:         84
        .size:           4
        .value_kind:     hidden_block_count_y
      - .offset:         88
        .size:           4
        .value_kind:     hidden_block_count_z
      - .offset:         92
        .size:           2
        .value_kind:     hidden_group_size_x
      - .offset:         94
        .size:           2
        .value_kind:     hidden_group_size_y
      - .offset:         96
        .size:           2
        .value_kind:     hidden_group_size_z
      - .offset:         98
        .size:           2
        .value_kind:     hidden_remainder_x
      - .offset:         100
        .size:           2
        .value_kind:     hidden_remainder_y
      - .offset:         102
        .size:           2
        .value_kind:     hidden_remainder_z
      - .offset:         120
        .size:           8
        .value_kind:     hidden_global_offset_x
      - .offset:         128
        .size:           8
        .value_kind:     hidden_global_offset_y
      - .offset:         136
        .size:           8
        .value_kind:     hidden_global_offset_z
      - .offset:         144
        .size:           2
        .value_kind:     hidden_grid_dims
    .group_segment_fixed_size: 0
    .kernarg_segment_align: 8
    .kernarg_segment_size: 336
    .language:       OpenCL C
    .language_version:
      - 2
      - 0
    .max_flat_workgroup_size: 128
    .name:           _ZL33flash_attn_stream_k_fixup_generalILi128ELi2ELi16EEvPfPK15HIP_vector_typeIfLj2EEiiiiS1_IjLj3EES5_S5_S5_
    .private_segment_fixed_size: 0
    .sgpr_count:     36
    .sgpr_spill_count: 0
    .symbol:         _ZL33flash_attn_stream_k_fixup_generalILi128ELi2ELi16EEvPfPK15HIP_vector_typeIfLj2EEiiiiS1_IjLj3EES5_S5_S5_.kd
    .uniform_work_group_size: 1
    .uses_dynamic_stack: false
    .vgpr_count:     22
    .vgpr_spill_count: 0
    .wavefront_size: 64
  - .agpr_count:     0
    .args:
      - .address_space:  global
        .offset:         0
        .size:           8
        .value_kind:     global_buffer
      - .address_space:  global
        .offset:         8
        .size:           8
        .value_kind:     global_buffer
      - .address_space:  global
        .offset:         16
        .size:           8
        .value_kind:     global_buffer
      - .offset:         24
        .size:           4
        .value_kind:     by_value
      - .offset:         32
        .size:           4
        .value_kind:     hidden_block_count_x
      - .offset:         36
        .size:           4
        .value_kind:     hidden_block_count_y
      - .offset:         40
        .size:           4
        .value_kind:     hidden_block_count_z
      - .offset:         44
        .size:           2
        .value_kind:     hidden_group_size_x
      - .offset:         46
        .size:           2
        .value_kind:     hidden_group_size_y
      - .offset:         48
        .size:           2
        .value_kind:     hidden_group_size_z
      - .offset:         50
        .size:           2
        .value_kind:     hidden_remainder_x
      - .offset:         52
        .size:           2
        .value_kind:     hidden_remainder_y
      - .offset:         54
        .size:           2
        .value_kind:     hidden_remainder_z
      - .offset:         72
        .size:           8
        .value_kind:     hidden_global_offset_x
      - .offset:         80
        .size:           8
        .value_kind:     hidden_global_offset_y
      - .offset:         88
        .size:           8
        .value_kind:     hidden_global_offset_z
      - .offset:         96
        .size:           2
        .value_kind:     hidden_grid_dims
      - .offset:         152
        .size:           4
        .value_kind:     hidden_dynamic_lds_size
    .group_segment_fixed_size: 0
    .kernarg_segment_align: 8
    .kernarg_segment_size: 288
    .language:       OpenCL C
    .language_version:
      - 2
      - 0
    .max_flat_workgroup_size: 128
    .name:           _ZL26flash_attn_combine_resultsILi128EEvPKfPK15HIP_vector_typeIfLj2EEPfi
    .private_segment_fixed_size: 0
    .sgpr_count:     30
    .sgpr_spill_count: 0
    .symbol:         _ZL26flash_attn_combine_resultsILi128EEvPKfPK15HIP_vector_typeIfLj2EEPfi.kd
    .uniform_work_group_size: 1
    .uses_dynamic_stack: false
    .vgpr_count:     51
    .vgpr_spill_count: 0
    .wavefront_size: 64
  - .agpr_count:     0
    .args:
      - .address_space:  global
        .offset:         0
        .size:           8
        .value_kind:     global_buffer
      - .address_space:  global
        .offset:         8
        .size:           8
        .value_kind:     global_buffer
      - .address_space:  global
        .offset:         16
        .size:           8
        .value_kind:     global_buffer
      - .address_space:  global
        .offset:         24
        .size:           8
        .value_kind:     global_buffer
      - .address_space:  global
        .offset:         32
        .size:           8
        .value_kind:     global_buffer
      - .address_space:  global
        .offset:         40
        .size:           8
        .value_kind:     global_buffer
      - .address_space:  global
        .offset:         48
        .size:           8
        .value_kind:     global_buffer
      - .address_space:  global
        .offset:         56
        .size:           8
        .value_kind:     global_buffer
      - .offset:         64
        .size:           4
        .value_kind:     by_value
      - .offset:         68
        .size:           4
        .value_kind:     by_value
      - .offset:         72
        .size:           4
        .value_kind:     by_value
      - .offset:         76
        .size:           4
        .value_kind:     by_value
      - .offset:         80
        .size:           4
        .value_kind:     by_value
      - .offset:         84
        .size:           4
        .value_kind:     by_value
      - .offset:         88
        .size:           4
        .value_kind:     by_value
      - .offset:         92
        .size:           12
        .value_kind:     by_value
      - .offset:         104
        .size:           4
        .value_kind:     by_value
      - .offset:         108
        .size:           4
        .value_kind:     by_value
      - .offset:         112
        .size:           4
        .value_kind:     by_value
      - .offset:         116
        .size:           4
        .value_kind:     by_value
      - .offset:         120
        .size:           4
        .value_kind:     by_value
      - .offset:         124
        .size:           4
        .value_kind:     by_value
      - .offset:         128
        .size:           4
        .value_kind:     by_value
      - .offset:         132
        .size:           4
        .value_kind:     by_value
      - .offset:         136
        .size:           4
        .value_kind:     by_value
      - .offset:         140
        .size:           4
        .value_kind:     by_value
      - .offset:         144
        .size:           4
        .value_kind:     by_value
      - .offset:         152
        .size:           8
        .value_kind:     by_value
      - .offset:         160
        .size:           4
        .value_kind:     by_value
      - .offset:         164
        .size:           4
        .value_kind:     by_value
      - .offset:         168
        .size:           8
        .value_kind:     by_value
      - .offset:         176
        .size:           4
        .value_kind:     by_value
      - .offset:         180
        .size:           4
        .value_kind:     by_value
      - .offset:         184
        .size:           4
        .value_kind:     by_value
      - .offset:         188
        .size:           4
        .value_kind:     by_value
      - .offset:         192
        .size:           4
        .value_kind:     by_value
      - .offset:         200
        .size:           8
        .value_kind:     by_value
      - .offset:         208
        .size:           4
        .value_kind:     hidden_block_count_x
      - .offset:         212
        .size:           4
        .value_kind:     hidden_block_count_y
      - .offset:         216
        .size:           4
        .value_kind:     hidden_block_count_z
      - .offset:         220
        .size:           2
        .value_kind:     hidden_group_size_x
      - .offset:         222
        .size:           2
        .value_kind:     hidden_group_size_y
      - .offset:         224
        .size:           2
        .value_kind:     hidden_group_size_z
      - .offset:         226
        .size:           2
        .value_kind:     hidden_remainder_x
      - .offset:         228
        .size:           2
        .value_kind:     hidden_remainder_y
      - .offset:         230
        .size:           2
        .value_kind:     hidden_remainder_z
      - .offset:         248
        .size:           8
        .value_kind:     hidden_global_offset_x
      - .offset:         256
        .size:           8
        .value_kind:     hidden_global_offset_y
      - .offset:         264
        .size:           8
        .value_kind:     hidden_global_offset_z
      - .offset:         272
        .size:           2
        .value_kind:     hidden_grid_dims
    .group_segment_fixed_size: 11776
    .kernarg_segment_align: 8
    .kernarg_segment_size: 464
    .language:       OpenCL C
    .language_version:
      - 2
      - 0
    .max_flat_workgroup_size: 256
    .name:           _ZL15flash_attn_tileILi192ELi128ELi1ELi16ELb0EEvPKcS1_S1_S1_S1_PKiPfP15HIP_vector_typeIfLj2EEffffjfiS5_IjLj3EEiiiiiiiiiiiliiliiiiil
    .private_segment_fixed_size: 0
    .sgpr_count:     45
    .sgpr_spill_count: 0
    .symbol:         _ZL15flash_attn_tileILi192ELi128ELi1ELi16ELb0EEvPKcS1_S1_S1_S1_PKiPfP15HIP_vector_typeIfLj2EEffffjfiS5_IjLj3EEiiiiiiiiiiiliiliiiiil.kd
    .uniform_work_group_size: 1
    .uses_dynamic_stack: false
    .vgpr_count:     90
    .vgpr_spill_count: 0
    .wavefront_size: 64
  - .agpr_count:     0
    .args:
      - .actual_access:  read_only
        .address_space:  global
        .offset:         0
        .size:           8
        .value_kind:     global_buffer
      - .actual_access:  write_only
        .address_space:  global
        .offset:         8
        .size:           8
        .value_kind:     global_buffer
      - .offset:         16
        .size:           4
        .value_kind:     by_value
      - .offset:         20
        .size:           4
        .value_kind:     by_value
      - .offset:         24
        .size:           4
        .value_kind:     by_value
      - .offset:         32
        .size:           4
        .value_kind:     hidden_block_count_x
      - .offset:         36
        .size:           4
        .value_kind:     hidden_block_count_y
      - .offset:         40
        .size:           4
        .value_kind:     hidden_block_count_z
      - .offset:         44
        .size:           2
        .value_kind:     hidden_group_size_x
      - .offset:         46
        .size:           2
        .value_kind:     hidden_group_size_y
      - .offset:         48
        .size:           2
        .value_kind:     hidden_group_size_z
      - .offset:         50
        .size:           2
        .value_kind:     hidden_remainder_x
      - .offset:         52
        .size:           2
        .value_kind:     hidden_remainder_y
      - .offset:         54
        .size:           2
        .value_kind:     hidden_remainder_z
      - .offset:         72
        .size:           8
        .value_kind:     hidden_global_offset_x
      - .offset:         80
        .size:           8
        .value_kind:     hidden_global_offset_y
      - .offset:         88
        .size:           8
        .value_kind:     hidden_global_offset_z
      - .offset:         96
        .size:           2
        .value_kind:     hidden_grid_dims
    .group_segment_fixed_size: 128
    .kernarg_segment_align: 8
    .kernarg_segment_size: 288
    .language:       OpenCL C
    .language_version:
      - 2
      - 0
    .max_flat_workgroup_size: 128
    .name:           _ZL25flash_attn_mask_to_KV_maxILi1EEvPK7__half2Piiii
    .private_segment_fixed_size: 0
    .sgpr_count:     24
    .sgpr_spill_count: 0
    .symbol:         _ZL25flash_attn_mask_to_KV_maxILi1EEvPK7__half2Piiii.kd
    .uniform_work_group_size: 1
    .uses_dynamic_stack: false
    .vgpr_count:     18
    .vgpr_spill_count: 0
    .wavefront_size: 64
  - .agpr_count:     0
    .args:
      - .address_space:  global
        .offset:         0
        .size:           8
        .value_kind:     global_buffer
      - .address_space:  global
        .offset:         8
        .size:           8
        .value_kind:     global_buffer
      - .offset:         16
        .size:           4
        .value_kind:     by_value
      - .offset:         20
        .size:           4
        .value_kind:     by_value
      - .offset:         24
        .size:           4
        .value_kind:     by_value
      - .offset:         28
        .size:           4
        .value_kind:     by_value
      - .offset:         32
        .size:           4
        .value_kind:     by_value
      - .offset:         36
        .size:           4
        .value_kind:     by_value
      - .offset:         40
        .size:           12
        .value_kind:     by_value
      - .offset:         52
        .size:           12
        .value_kind:     by_value
      - .offset:         64
        .size:           12
        .value_kind:     by_value
    .group_segment_fixed_size: 0
    .kernarg_segment_align: 8
    .kernarg_segment_size: 76
    .language:       OpenCL C
    .language_version:
      - 2
      - 0
    .max_flat_workgroup_size: 128
    .name:           _ZL33flash_attn_stream_k_fixup_uniformILi128ELi1ELi16EEvPfPK15HIP_vector_typeIfLj2EEiiiiiiS1_IjLj3EES5_S5_
    .private_segment_fixed_size: 0
    .sgpr_count:     24
    .sgpr_spill_count: 0
    .symbol:         _ZL33flash_attn_stream_k_fixup_uniformILi128ELi1ELi16EEvPfPK15HIP_vector_typeIfLj2EEiiiiiiS1_IjLj3EES5_S5_.kd
    .uniform_work_group_size: 1
    .uses_dynamic_stack: false
    .vgpr_count:     17
    .vgpr_spill_count: 0
    .wavefront_size: 64
  - .agpr_count:     0
    .args:
      - .address_space:  global
        .offset:         0
        .size:           8
        .value_kind:     global_buffer
      - .address_space:  global
        .offset:         8
        .size:           8
        .value_kind:     global_buffer
      - .offset:         16
        .size:           4
        .value_kind:     by_value
      - .offset:         20
        .size:           4
        .value_kind:     by_value
      - .offset:         24
        .size:           4
        .value_kind:     by_value
      - .offset:         28
        .size:           4
        .value_kind:     by_value
      - .offset:         32
        .size:           12
        .value_kind:     by_value
      - .offset:         44
        .size:           12
        .value_kind:     by_value
      - .offset:         56
        .size:           12
        .value_kind:     by_value
      - .offset:         68
        .size:           12
        .value_kind:     by_value
      - .offset:         80
        .size:           4
        .value_kind:     hidden_block_count_x
      - .offset:         84
        .size:           4
        .value_kind:     hidden_block_count_y
      - .offset:         88
        .size:           4
        .value_kind:     hidden_block_count_z
      - .offset:         92
        .size:           2
        .value_kind:     hidden_group_size_x
      - .offset:         94
        .size:           2
        .value_kind:     hidden_group_size_y
      - .offset:         96
        .size:           2
        .value_kind:     hidden_group_size_z
      - .offset:         98
        .size:           2
        .value_kind:     hidden_remainder_x
      - .offset:         100
        .size:           2
        .value_kind:     hidden_remainder_y
      - .offset:         102
        .size:           2
        .value_kind:     hidden_remainder_z
      - .offset:         120
        .size:           8
        .value_kind:     hidden_global_offset_x
      - .offset:         128
        .size:           8
        .value_kind:     hidden_global_offset_y
      - .offset:         136
        .size:           8
        .value_kind:     hidden_global_offset_z
      - .offset:         144
        .size:           2
        .value_kind:     hidden_grid_dims
    .group_segment_fixed_size: 0
    .kernarg_segment_align: 8
    .kernarg_segment_size: 336
    .language:       OpenCL C
    .language_version:
      - 2
      - 0
    .max_flat_workgroup_size: 128
    .name:           _ZL33flash_attn_stream_k_fixup_generalILi128ELi1ELi16EEvPfPK15HIP_vector_typeIfLj2EEiiiiS1_IjLj3EES5_S5_S5_
    .private_segment_fixed_size: 0
    .sgpr_count:     36
    .sgpr_spill_count: 0
    .symbol:         _ZL33flash_attn_stream_k_fixup_generalILi128ELi1ELi16EEvPfPK15HIP_vector_typeIfLj2EEiiiiS1_IjLj3EES5_S5_S5_.kd
    .uniform_work_group_size: 1
    .uses_dynamic_stack: false
    .vgpr_count:     22
    .vgpr_spill_count: 0
    .wavefront_size: 64
  - .agpr_count:     0
    .args:
      - .address_space:  global
        .offset:         0
        .size:           8
        .value_kind:     global_buffer
      - .address_space:  global
        .offset:         8
        .size:           8
        .value_kind:     global_buffer
      - .address_space:  global
        .offset:         16
        .size:           8
        .value_kind:     global_buffer
      - .address_space:  global
        .offset:         24
        .size:           8
        .value_kind:     global_buffer
      - .address_space:  global
        .offset:         32
        .size:           8
        .value_kind:     global_buffer
      - .address_space:  global
        .offset:         40
        .size:           8
        .value_kind:     global_buffer
      - .address_space:  global
        .offset:         48
        .size:           8
        .value_kind:     global_buffer
      - .address_space:  global
        .offset:         56
        .size:           8
        .value_kind:     global_buffer
      - .offset:         64
        .size:           4
        .value_kind:     by_value
      - .offset:         68
        .size:           4
        .value_kind:     by_value
      - .offset:         72
        .size:           4
        .value_kind:     by_value
      - .offset:         76
        .size:           4
        .value_kind:     by_value
      - .offset:         80
        .size:           4
        .value_kind:     by_value
      - .offset:         84
        .size:           4
        .value_kind:     by_value
      - .offset:         88
        .size:           4
        .value_kind:     by_value
      - .offset:         92
        .size:           12
        .value_kind:     by_value
      - .offset:         104
        .size:           4
        .value_kind:     by_value
      - .offset:         108
        .size:           4
        .value_kind:     by_value
      - .offset:         112
        .size:           4
        .value_kind:     by_value
      - .offset:         116
        .size:           4
        .value_kind:     by_value
      - .offset:         120
        .size:           4
        .value_kind:     by_value
      - .offset:         124
        .size:           4
        .value_kind:     by_value
      - .offset:         128
        .size:           4
        .value_kind:     by_value
      - .offset:         132
        .size:           4
        .value_kind:     by_value
      - .offset:         136
        .size:           4
        .value_kind:     by_value
      - .offset:         140
        .size:           4
        .value_kind:     by_value
      - .offset:         144
        .size:           4
        .value_kind:     by_value
      - .offset:         152
        .size:           8
        .value_kind:     by_value
      - .offset:         160
        .size:           4
        .value_kind:     by_value
      - .offset:         164
        .size:           4
        .value_kind:     by_value
      - .offset:         168
        .size:           8
        .value_kind:     by_value
      - .offset:         176
        .size:           4
        .value_kind:     by_value
      - .offset:         180
        .size:           4
        .value_kind:     by_value
      - .offset:         184
        .size:           4
        .value_kind:     by_value
      - .offset:         188
        .size:           4
        .value_kind:     by_value
      - .offset:         192
        .size:           4
        .value_kind:     by_value
      - .offset:         200
        .size:           8
        .value_kind:     by_value
      - .offset:         208
        .size:           4
        .value_kind:     hidden_block_count_x
      - .offset:         212
        .size:           4
        .value_kind:     hidden_block_count_y
      - .offset:         216
        .size:           4
        .value_kind:     hidden_block_count_z
      - .offset:         220
        .size:           2
        .value_kind:     hidden_group_size_x
      - .offset:         222
        .size:           2
        .value_kind:     hidden_group_size_y
      - .offset:         224
        .size:           2
        .value_kind:     hidden_group_size_z
      - .offset:         226
        .size:           2
        .value_kind:     hidden_remainder_x
      - .offset:         228
        .size:           2
        .value_kind:     hidden_remainder_y
      - .offset:         230
        .size:           2
        .value_kind:     hidden_remainder_z
      - .offset:         248
        .size:           8
        .value_kind:     hidden_global_offset_x
      - .offset:         256
        .size:           8
        .value_kind:     hidden_global_offset_y
      - .offset:         264
        .size:           8
        .value_kind:     hidden_global_offset_z
      - .offset:         272
        .size:           2
        .value_kind:     hidden_grid_dims
    .group_segment_fixed_size: 18944
    .kernarg_segment_align: 8
    .kernarg_segment_size: 464
    .language:       OpenCL C
    .language_version:
      - 2
      - 0
    .max_flat_workgroup_size: 256
    .name:           _ZL15flash_attn_tileILi192ELi128ELi4ELi8ELb0EEvPKcS1_S1_S1_S1_PKiPfP15HIP_vector_typeIfLj2EEffffjfiS5_IjLj3EEiiiiiiiiiiiliiliiiiil
    .private_segment_fixed_size: 0
    .sgpr_count:     45
    .sgpr_spill_count: 0
    .symbol:         _ZL15flash_attn_tileILi192ELi128ELi4ELi8ELb0EEvPKcS1_S1_S1_S1_PKiPfP15HIP_vector_typeIfLj2EEffffjfiS5_IjLj3EEiiiiiiiiiiiliiliiiiil.kd
    .uniform_work_group_size: 1
    .uses_dynamic_stack: false
    .vgpr_count:     117
    .vgpr_spill_count: 0
    .wavefront_size: 64
  - .agpr_count:     0
    .args:
      - .actual_access:  read_only
        .address_space:  global
        .offset:         0
        .size:           8
        .value_kind:     global_buffer
      - .actual_access:  write_only
        .address_space:  global
        .offset:         8
        .size:           8
        .value_kind:     global_buffer
      - .offset:         16
        .size:           4
        .value_kind:     by_value
      - .offset:         20
        .size:           4
        .value_kind:     by_value
      - .offset:         24
        .size:           4
        .value_kind:     by_value
      - .offset:         32
        .size:           4
        .value_kind:     hidden_block_count_x
      - .offset:         36
        .size:           4
        .value_kind:     hidden_block_count_y
      - .offset:         40
        .size:           4
        .value_kind:     hidden_block_count_z
      - .offset:         44
        .size:           2
        .value_kind:     hidden_group_size_x
      - .offset:         46
        .size:           2
        .value_kind:     hidden_group_size_y
      - .offset:         48
        .size:           2
        .value_kind:     hidden_group_size_z
      - .offset:         50
        .size:           2
        .value_kind:     hidden_remainder_x
      - .offset:         52
        .size:           2
        .value_kind:     hidden_remainder_y
      - .offset:         54
        .size:           2
        .value_kind:     hidden_remainder_z
      - .offset:         72
        .size:           8
        .value_kind:     hidden_global_offset_x
      - .offset:         80
        .size:           8
        .value_kind:     hidden_global_offset_y
      - .offset:         88
        .size:           8
        .value_kind:     hidden_global_offset_z
      - .offset:         96
        .size:           2
        .value_kind:     hidden_grid_dims
    .group_segment_fixed_size: 128
    .kernarg_segment_align: 8
    .kernarg_segment_size: 288
    .language:       OpenCL C
    .language_version:
      - 2
      - 0
    .max_flat_workgroup_size: 128
    .name:           _ZL25flash_attn_mask_to_KV_maxILi4EEvPK7__half2Piiii
    .private_segment_fixed_size: 0
    .sgpr_count:     40
    .sgpr_spill_count: 0
    .symbol:         _ZL25flash_attn_mask_to_KV_maxILi4EEvPK7__half2Piiii.kd
    .uniform_work_group_size: 1
    .uses_dynamic_stack: false
    .vgpr_count:     17
    .vgpr_spill_count: 0
    .wavefront_size: 64
  - .agpr_count:     0
    .args:
      - .address_space:  global
        .offset:         0
        .size:           8
        .value_kind:     global_buffer
      - .address_space:  global
        .offset:         8
        .size:           8
        .value_kind:     global_buffer
      - .offset:         16
        .size:           4
        .value_kind:     by_value
      - .offset:         20
        .size:           4
        .value_kind:     by_value
      - .offset:         24
        .size:           4
        .value_kind:     by_value
      - .offset:         28
        .size:           4
        .value_kind:     by_value
      - .offset:         32
        .size:           4
        .value_kind:     by_value
      - .offset:         36
        .size:           4
        .value_kind:     by_value
      - .offset:         40
        .size:           12
        .value_kind:     by_value
      - .offset:         52
        .size:           12
        .value_kind:     by_value
      - .offset:         64
        .size:           12
        .value_kind:     by_value
    .group_segment_fixed_size: 0
    .kernarg_segment_align: 8
    .kernarg_segment_size: 76
    .language:       OpenCL C
    .language_version:
      - 2
      - 0
    .max_flat_workgroup_size: 128
    .name:           _ZL33flash_attn_stream_k_fixup_uniformILi128ELi4ELi8EEvPfPK15HIP_vector_typeIfLj2EEiiiiiiS1_IjLj3EES5_S5_
    .private_segment_fixed_size: 0
    .sgpr_count:     24
    .sgpr_spill_count: 0
    .symbol:         _ZL33flash_attn_stream_k_fixup_uniformILi128ELi4ELi8EEvPfPK15HIP_vector_typeIfLj2EEiiiiiiS1_IjLj3EES5_S5_.kd
    .uniform_work_group_size: 1
    .uses_dynamic_stack: false
    .vgpr_count:     17
    .vgpr_spill_count: 0
    .wavefront_size: 64
  - .agpr_count:     0
    .args:
      - .address_space:  global
        .offset:         0
        .size:           8
        .value_kind:     global_buffer
      - .address_space:  global
        .offset:         8
        .size:           8
        .value_kind:     global_buffer
      - .offset:         16
        .size:           4
        .value_kind:     by_value
      - .offset:         20
        .size:           4
        .value_kind:     by_value
      - .offset:         24
        .size:           4
        .value_kind:     by_value
      - .offset:         28
        .size:           4
        .value_kind:     by_value
      - .offset:         32
        .size:           12
        .value_kind:     by_value
      - .offset:         44
        .size:           12
        .value_kind:     by_value
      - .offset:         56
        .size:           12
        .value_kind:     by_value
      - .offset:         68
        .size:           12
        .value_kind:     by_value
      - .offset:         80
        .size:           4
        .value_kind:     hidden_block_count_x
      - .offset:         84
        .size:           4
        .value_kind:     hidden_block_count_y
      - .offset:         88
        .size:           4
        .value_kind:     hidden_block_count_z
      - .offset:         92
        .size:           2
        .value_kind:     hidden_group_size_x
      - .offset:         94
        .size:           2
        .value_kind:     hidden_group_size_y
      - .offset:         96
        .size:           2
        .value_kind:     hidden_group_size_z
      - .offset:         98
        .size:           2
        .value_kind:     hidden_remainder_x
      - .offset:         100
        .size:           2
        .value_kind:     hidden_remainder_y
      - .offset:         102
        .size:           2
        .value_kind:     hidden_remainder_z
      - .offset:         120
        .size:           8
        .value_kind:     hidden_global_offset_x
      - .offset:         128
        .size:           8
        .value_kind:     hidden_global_offset_y
      - .offset:         136
        .size:           8
        .value_kind:     hidden_global_offset_z
      - .offset:         144
        .size:           2
        .value_kind:     hidden_grid_dims
    .group_segment_fixed_size: 0
    .kernarg_segment_align: 8
    .kernarg_segment_size: 336
    .language:       OpenCL C
    .language_version:
      - 2
      - 0
    .max_flat_workgroup_size: 128
    .name:           _ZL33flash_attn_stream_k_fixup_generalILi128ELi4ELi8EEvPfPK15HIP_vector_typeIfLj2EEiiiiS1_IjLj3EES5_S5_S5_
    .private_segment_fixed_size: 0
    .sgpr_count:     36
    .sgpr_spill_count: 0
    .symbol:         _ZL33flash_attn_stream_k_fixup_generalILi128ELi4ELi8EEvPfPK15HIP_vector_typeIfLj2EEiiiiS1_IjLj3EES5_S5_S5_.kd
    .uniform_work_group_size: 1
    .uses_dynamic_stack: false
    .vgpr_count:     22
    .vgpr_spill_count: 0
    .wavefront_size: 64
  - .agpr_count:     0
    .args:
      - .address_space:  global
        .offset:         0
        .size:           8
        .value_kind:     global_buffer
      - .address_space:  global
        .offset:         8
        .size:           8
        .value_kind:     global_buffer
      - .address_space:  global
        .offset:         16
        .size:           8
        .value_kind:     global_buffer
      - .address_space:  global
        .offset:         24
        .size:           8
        .value_kind:     global_buffer
      - .address_space:  global
        .offset:         32
        .size:           8
        .value_kind:     global_buffer
      - .address_space:  global
        .offset:         40
        .size:           8
        .value_kind:     global_buffer
      - .address_space:  global
        .offset:         48
        .size:           8
        .value_kind:     global_buffer
      - .address_space:  global
        .offset:         56
        .size:           8
        .value_kind:     global_buffer
      - .offset:         64
        .size:           4
        .value_kind:     by_value
      - .offset:         68
        .size:           4
        .value_kind:     by_value
      - .offset:         72
        .size:           4
        .value_kind:     by_value
      - .offset:         76
        .size:           4
        .value_kind:     by_value
      - .offset:         80
        .size:           4
        .value_kind:     by_value
      - .offset:         84
        .size:           4
        .value_kind:     by_value
      - .offset:         88
        .size:           4
        .value_kind:     by_value
      - .offset:         92
        .size:           12
        .value_kind:     by_value
      - .offset:         104
        .size:           4
        .value_kind:     by_value
      - .offset:         108
        .size:           4
        .value_kind:     by_value
      - .offset:         112
        .size:           4
        .value_kind:     by_value
      - .offset:         116
        .size:           4
        .value_kind:     by_value
      - .offset:         120
        .size:           4
        .value_kind:     by_value
      - .offset:         124
        .size:           4
        .value_kind:     by_value
      - .offset:         128
        .size:           4
        .value_kind:     by_value
      - .offset:         132
        .size:           4
        .value_kind:     by_value
      - .offset:         136
        .size:           4
        .value_kind:     by_value
      - .offset:         140
        .size:           4
        .value_kind:     by_value
      - .offset:         144
        .size:           4
        .value_kind:     by_value
      - .offset:         152
        .size:           8
        .value_kind:     by_value
      - .offset:         160
        .size:           4
        .value_kind:     by_value
      - .offset:         164
        .size:           4
        .value_kind:     by_value
      - .offset:         168
        .size:           8
        .value_kind:     by_value
      - .offset:         176
        .size:           4
        .value_kind:     by_value
      - .offset:         180
        .size:           4
        .value_kind:     by_value
      - .offset:         184
        .size:           4
        .value_kind:     by_value
      - .offset:         188
        .size:           4
        .value_kind:     by_value
      - .offset:         192
        .size:           4
        .value_kind:     by_value
      - .offset:         200
        .size:           8
        .value_kind:     by_value
      - .offset:         208
        .size:           4
        .value_kind:     hidden_block_count_x
      - .offset:         212
        .size:           4
        .value_kind:     hidden_block_count_y
      - .offset:         216
        .size:           4
        .value_kind:     hidden_block_count_z
      - .offset:         220
        .size:           2
        .value_kind:     hidden_group_size_x
      - .offset:         222
        .size:           2
        .value_kind:     hidden_group_size_y
      - .offset:         224
        .size:           2
        .value_kind:     hidden_group_size_z
      - .offset:         226
        .size:           2
        .value_kind:     hidden_remainder_x
      - .offset:         228
        .size:           2
        .value_kind:     hidden_remainder_y
      - .offset:         230
        .size:           2
        .value_kind:     hidden_remainder_z
      - .offset:         248
        .size:           8
        .value_kind:     hidden_global_offset_x
      - .offset:         256
        .size:           8
        .value_kind:     hidden_global_offset_y
      - .offset:         264
        .size:           8
        .value_kind:     hidden_global_offset_z
      - .offset:         272
        .size:           2
        .value_kind:     hidden_grid_dims
    .group_segment_fixed_size: 11776
    .kernarg_segment_align: 8
    .kernarg_segment_size: 464
    .language:       OpenCL C
    .language_version:
      - 2
      - 0
    .max_flat_workgroup_size: 256
    .name:           _ZL15flash_attn_tileILi192ELi128ELi2ELi8ELb0EEvPKcS1_S1_S1_S1_PKiPfP15HIP_vector_typeIfLj2EEffffjfiS5_IjLj3EEiiiiiiiiiiiliiliiiiil
    .private_segment_fixed_size: 0
    .sgpr_count:     45
    .sgpr_spill_count: 0
    .symbol:         _ZL15flash_attn_tileILi192ELi128ELi2ELi8ELb0EEvPKcS1_S1_S1_S1_PKiPfP15HIP_vector_typeIfLj2EEffffjfiS5_IjLj3EEiiiiiiiiiiiliiliiiiil.kd
    .uniform_work_group_size: 1
    .uses_dynamic_stack: false
    .vgpr_count:     90
    .vgpr_spill_count: 0
    .wavefront_size: 64
  - .agpr_count:     0
    .args:
      - .address_space:  global
        .offset:         0
        .size:           8
        .value_kind:     global_buffer
      - .address_space:  global
        .offset:         8
        .size:           8
        .value_kind:     global_buffer
      - .offset:         16
        .size:           4
        .value_kind:     by_value
      - .offset:         20
        .size:           4
        .value_kind:     by_value
      - .offset:         24
        .size:           4
        .value_kind:     by_value
      - .offset:         28
        .size:           4
        .value_kind:     by_value
      - .offset:         32
        .size:           4
        .value_kind:     by_value
      - .offset:         36
        .size:           4
        .value_kind:     by_value
      - .offset:         40
        .size:           12
        .value_kind:     by_value
      - .offset:         52
        .size:           12
        .value_kind:     by_value
      - .offset:         64
        .size:           12
        .value_kind:     by_value
    .group_segment_fixed_size: 0
    .kernarg_segment_align: 8
    .kernarg_segment_size: 76
    .language:       OpenCL C
    .language_version:
      - 2
      - 0
    .max_flat_workgroup_size: 128
    .name:           _ZL33flash_attn_stream_k_fixup_uniformILi128ELi2ELi8EEvPfPK15HIP_vector_typeIfLj2EEiiiiiiS1_IjLj3EES5_S5_
    .private_segment_fixed_size: 0
    .sgpr_count:     24
    .sgpr_spill_count: 0
    .symbol:         _ZL33flash_attn_stream_k_fixup_uniformILi128ELi2ELi8EEvPfPK15HIP_vector_typeIfLj2EEiiiiiiS1_IjLj3EES5_S5_.kd
    .uniform_work_group_size: 1
    .uses_dynamic_stack: false
    .vgpr_count:     17
    .vgpr_spill_count: 0
    .wavefront_size: 64
  - .agpr_count:     0
    .args:
      - .address_space:  global
        .offset:         0
        .size:           8
        .value_kind:     global_buffer
      - .address_space:  global
        .offset:         8
        .size:           8
        .value_kind:     global_buffer
      - .offset:         16
        .size:           4
        .value_kind:     by_value
      - .offset:         20
        .size:           4
        .value_kind:     by_value
      - .offset:         24
        .size:           4
        .value_kind:     by_value
      - .offset:         28
        .size:           4
        .value_kind:     by_value
      - .offset:         32
        .size:           12
        .value_kind:     by_value
      - .offset:         44
        .size:           12
        .value_kind:     by_value
      - .offset:         56
        .size:           12
        .value_kind:     by_value
      - .offset:         68
        .size:           12
        .value_kind:     by_value
      - .offset:         80
        .size:           4
        .value_kind:     hidden_block_count_x
      - .offset:         84
        .size:           4
        .value_kind:     hidden_block_count_y
      - .offset:         88
        .size:           4
        .value_kind:     hidden_block_count_z
      - .offset:         92
        .size:           2
        .value_kind:     hidden_group_size_x
      - .offset:         94
        .size:           2
        .value_kind:     hidden_group_size_y
      - .offset:         96
        .size:           2
        .value_kind:     hidden_group_size_z
      - .offset:         98
        .size:           2
        .value_kind:     hidden_remainder_x
      - .offset:         100
        .size:           2
        .value_kind:     hidden_remainder_y
      - .offset:         102
        .size:           2
        .value_kind:     hidden_remainder_z
      - .offset:         120
        .size:           8
        .value_kind:     hidden_global_offset_x
      - .offset:         128
        .size:           8
        .value_kind:     hidden_global_offset_y
      - .offset:         136
        .size:           8
        .value_kind:     hidden_global_offset_z
      - .offset:         144
        .size:           2
        .value_kind:     hidden_grid_dims
    .group_segment_fixed_size: 0
    .kernarg_segment_align: 8
    .kernarg_segment_size: 336
    .language:       OpenCL C
    .language_version:
      - 2
      - 0
    .max_flat_workgroup_size: 128
    .name:           _ZL33flash_attn_stream_k_fixup_generalILi128ELi2ELi8EEvPfPK15HIP_vector_typeIfLj2EEiiiiS1_IjLj3EES5_S5_S5_
    .private_segment_fixed_size: 0
    .sgpr_count:     36
    .sgpr_spill_count: 0
    .symbol:         _ZL33flash_attn_stream_k_fixup_generalILi128ELi2ELi8EEvPfPK15HIP_vector_typeIfLj2EEiiiiS1_IjLj3EES5_S5_S5_.kd
    .uniform_work_group_size: 1
    .uses_dynamic_stack: false
    .vgpr_count:     22
    .vgpr_spill_count: 0
    .wavefront_size: 64
  - .agpr_count:     0
    .args:
      - .address_space:  global
        .offset:         0
        .size:           8
        .value_kind:     global_buffer
      - .address_space:  global
        .offset:         8
        .size:           8
        .value_kind:     global_buffer
      - .address_space:  global
        .offset:         16
        .size:           8
        .value_kind:     global_buffer
      - .address_space:  global
        .offset:         24
        .size:           8
        .value_kind:     global_buffer
      - .address_space:  global
        .offset:         32
        .size:           8
        .value_kind:     global_buffer
      - .address_space:  global
        .offset:         40
        .size:           8
        .value_kind:     global_buffer
      - .address_space:  global
        .offset:         48
        .size:           8
        .value_kind:     global_buffer
      - .address_space:  global
        .offset:         56
        .size:           8
        .value_kind:     global_buffer
      - .offset:         64
        .size:           4
        .value_kind:     by_value
      - .offset:         68
        .size:           4
        .value_kind:     by_value
      - .offset:         72
        .size:           4
        .value_kind:     by_value
      - .offset:         76
        .size:           4
        .value_kind:     by_value
      - .offset:         80
        .size:           4
        .value_kind:     by_value
      - .offset:         84
        .size:           4
        .value_kind:     by_value
      - .offset:         88
        .size:           4
        .value_kind:     by_value
      - .offset:         92
        .size:           12
        .value_kind:     by_value
      - .offset:         104
        .size:           4
        .value_kind:     by_value
      - .offset:         108
        .size:           4
        .value_kind:     by_value
      - .offset:         112
        .size:           4
        .value_kind:     by_value
      - .offset:         116
        .size:           4
        .value_kind:     by_value
      - .offset:         120
        .size:           4
        .value_kind:     by_value
      - .offset:         124
        .size:           4
        .value_kind:     by_value
      - .offset:         128
        .size:           4
        .value_kind:     by_value
      - .offset:         132
        .size:           4
        .value_kind:     by_value
      - .offset:         136
        .size:           4
        .value_kind:     by_value
      - .offset:         140
        .size:           4
        .value_kind:     by_value
      - .offset:         144
        .size:           4
        .value_kind:     by_value
      - .offset:         152
        .size:           8
        .value_kind:     by_value
      - .offset:         160
        .size:           4
        .value_kind:     by_value
      - .offset:         164
        .size:           4
        .value_kind:     by_value
      - .offset:         168
        .size:           8
        .value_kind:     by_value
      - .offset:         176
        .size:           4
        .value_kind:     by_value
      - .offset:         180
        .size:           4
        .value_kind:     by_value
      - .offset:         184
        .size:           4
        .value_kind:     by_value
      - .offset:         188
        .size:           4
        .value_kind:     by_value
      - .offset:         192
        .size:           4
        .value_kind:     by_value
      - .offset:         200
        .size:           8
        .value_kind:     by_value
      - .offset:         208
        .size:           4
        .value_kind:     hidden_block_count_x
      - .offset:         212
        .size:           4
        .value_kind:     hidden_block_count_y
      - .offset:         216
        .size:           4
        .value_kind:     hidden_block_count_z
      - .offset:         220
        .size:           2
        .value_kind:     hidden_group_size_x
      - .offset:         222
        .size:           2
        .value_kind:     hidden_group_size_y
      - .offset:         224
        .size:           2
        .value_kind:     hidden_group_size_z
      - .offset:         226
        .size:           2
        .value_kind:     hidden_remainder_x
      - .offset:         228
        .size:           2
        .value_kind:     hidden_remainder_y
      - .offset:         230
        .size:           2
        .value_kind:     hidden_remainder_z
      - .offset:         248
        .size:           8
        .value_kind:     hidden_global_offset_x
      - .offset:         256
        .size:           8
        .value_kind:     hidden_global_offset_y
      - .offset:         264
        .size:           8
        .value_kind:     hidden_global_offset_z
      - .offset:         272
        .size:           2
        .value_kind:     hidden_grid_dims
    .group_segment_fixed_size: 13312
    .kernarg_segment_align: 8
    .kernarg_segment_size: 464
    .language:       OpenCL C
    .language_version:
      - 2
      - 0
    .max_flat_workgroup_size: 256
    .name:           _ZL15flash_attn_tileILi192ELi128ELi1ELi8ELb0EEvPKcS1_S1_S1_S1_PKiPfP15HIP_vector_typeIfLj2EEffffjfiS5_IjLj3EEiiiiiiiiiiiliiliiiiil
    .private_segment_fixed_size: 0
    .sgpr_count:     48
    .sgpr_spill_count: 0
    .symbol:         _ZL15flash_attn_tileILi192ELi128ELi1ELi8ELb0EEvPKcS1_S1_S1_S1_PKiPfP15HIP_vector_typeIfLj2EEffffjfiS5_IjLj3EEiiiiiiiiiiiliiliiiiil.kd
    .uniform_work_group_size: 1
    .uses_dynamic_stack: false
    .vgpr_count:     124
    .vgpr_spill_count: 0
    .wavefront_size: 64
  - .agpr_count:     0
    .args:
      - .address_space:  global
        .offset:         0
        .size:           8
        .value_kind:     global_buffer
      - .address_space:  global
        .offset:         8
        .size:           8
        .value_kind:     global_buffer
      - .offset:         16
        .size:           4
        .value_kind:     by_value
      - .offset:         20
        .size:           4
        .value_kind:     by_value
      - .offset:         24
        .size:           4
        .value_kind:     by_value
      - .offset:         28
        .size:           4
        .value_kind:     by_value
      - .offset:         32
        .size:           4
        .value_kind:     by_value
      - .offset:         36
        .size:           4
        .value_kind:     by_value
      - .offset:         40
        .size:           12
        .value_kind:     by_value
      - .offset:         52
        .size:           12
        .value_kind:     by_value
      - .offset:         64
        .size:           12
        .value_kind:     by_value
    .group_segment_fixed_size: 0
    .kernarg_segment_align: 8
    .kernarg_segment_size: 76
    .language:       OpenCL C
    .language_version:
      - 2
      - 0
    .max_flat_workgroup_size: 128
    .name:           _ZL33flash_attn_stream_k_fixup_uniformILi128ELi1ELi8EEvPfPK15HIP_vector_typeIfLj2EEiiiiiiS1_IjLj3EES5_S5_
    .private_segment_fixed_size: 0
    .sgpr_count:     24
    .sgpr_spill_count: 0
    .symbol:         _ZL33flash_attn_stream_k_fixup_uniformILi128ELi1ELi8EEvPfPK15HIP_vector_typeIfLj2EEiiiiiiS1_IjLj3EES5_S5_.kd
    .uniform_work_group_size: 1
    .uses_dynamic_stack: false
    .vgpr_count:     17
    .vgpr_spill_count: 0
    .wavefront_size: 64
  - .agpr_count:     0
    .args:
      - .address_space:  global
        .offset:         0
        .size:           8
        .value_kind:     global_buffer
      - .address_space:  global
        .offset:         8
        .size:           8
        .value_kind:     global_buffer
      - .offset:         16
        .size:           4
        .value_kind:     by_value
      - .offset:         20
        .size:           4
        .value_kind:     by_value
      - .offset:         24
        .size:           4
        .value_kind:     by_value
      - .offset:         28
        .size:           4
        .value_kind:     by_value
      - .offset:         32
        .size:           12
        .value_kind:     by_value
      - .offset:         44
        .size:           12
        .value_kind:     by_value
      - .offset:         56
        .size:           12
        .value_kind:     by_value
      - .offset:         68
        .size:           12
        .value_kind:     by_value
      - .offset:         80
        .size:           4
        .value_kind:     hidden_block_count_x
      - .offset:         84
        .size:           4
        .value_kind:     hidden_block_count_y
      - .offset:         88
        .size:           4
        .value_kind:     hidden_block_count_z
      - .offset:         92
        .size:           2
        .value_kind:     hidden_group_size_x
      - .offset:         94
        .size:           2
        .value_kind:     hidden_group_size_y
      - .offset:         96
        .size:           2
        .value_kind:     hidden_group_size_z
      - .offset:         98
        .size:           2
        .value_kind:     hidden_remainder_x
      - .offset:         100
        .size:           2
        .value_kind:     hidden_remainder_y
      - .offset:         102
        .size:           2
        .value_kind:     hidden_remainder_z
      - .offset:         120
        .size:           8
        .value_kind:     hidden_global_offset_x
      - .offset:         128
        .size:           8
        .value_kind:     hidden_global_offset_y
      - .offset:         136
        .size:           8
        .value_kind:     hidden_global_offset_z
      - .offset:         144
        .size:           2
        .value_kind:     hidden_grid_dims
    .group_segment_fixed_size: 0
    .kernarg_segment_align: 8
    .kernarg_segment_size: 336
    .language:       OpenCL C
    .language_version:
      - 2
      - 0
    .max_flat_workgroup_size: 128
    .name:           _ZL33flash_attn_stream_k_fixup_generalILi128ELi1ELi8EEvPfPK15HIP_vector_typeIfLj2EEiiiiS1_IjLj3EES5_S5_S5_
    .private_segment_fixed_size: 0
    .sgpr_count:     36
    .sgpr_spill_count: 0
    .symbol:         _ZL33flash_attn_stream_k_fixup_generalILi128ELi1ELi8EEvPfPK15HIP_vector_typeIfLj2EEiiiiS1_IjLj3EES5_S5_S5_.kd
    .uniform_work_group_size: 1
    .uses_dynamic_stack: false
    .vgpr_count:     22
    .vgpr_spill_count: 0
    .wavefront_size: 64
  - .agpr_count:     0
    .args:
      - .address_space:  global
        .offset:         0
        .size:           8
        .value_kind:     global_buffer
      - .address_space:  global
        .offset:         8
        .size:           8
        .value_kind:     global_buffer
      - .address_space:  global
        .offset:         16
        .size:           8
        .value_kind:     global_buffer
      - .address_space:  global
        .offset:         24
        .size:           8
        .value_kind:     global_buffer
      - .address_space:  global
        .offset:         32
        .size:           8
        .value_kind:     global_buffer
      - .address_space:  global
        .offset:         40
        .size:           8
        .value_kind:     global_buffer
      - .address_space:  global
        .offset:         48
        .size:           8
        .value_kind:     global_buffer
      - .address_space:  global
        .offset:         56
        .size:           8
        .value_kind:     global_buffer
      - .offset:         64
        .size:           4
        .value_kind:     by_value
      - .offset:         68
        .size:           4
        .value_kind:     by_value
      - .offset:         72
        .size:           4
        .value_kind:     by_value
      - .offset:         76
        .size:           4
        .value_kind:     by_value
      - .offset:         80
        .size:           4
        .value_kind:     by_value
      - .offset:         84
        .size:           4
        .value_kind:     by_value
      - .offset:         88
        .size:           4
        .value_kind:     by_value
      - .offset:         92
        .size:           12
        .value_kind:     by_value
      - .offset:         104
        .size:           4
        .value_kind:     by_value
      - .offset:         108
        .size:           4
        .value_kind:     by_value
      - .offset:         112
        .size:           4
        .value_kind:     by_value
      - .offset:         116
        .size:           4
        .value_kind:     by_value
      - .offset:         120
        .size:           4
        .value_kind:     by_value
      - .offset:         124
        .size:           4
        .value_kind:     by_value
      - .offset:         128
        .size:           4
        .value_kind:     by_value
      - .offset:         132
        .size:           4
        .value_kind:     by_value
      - .offset:         136
        .size:           4
        .value_kind:     by_value
      - .offset:         140
        .size:           4
        .value_kind:     by_value
      - .offset:         144
        .size:           4
        .value_kind:     by_value
      - .offset:         152
        .size:           8
        .value_kind:     by_value
      - .offset:         160
        .size:           4
        .value_kind:     by_value
      - .offset:         164
        .size:           4
        .value_kind:     by_value
      - .offset:         168
        .size:           8
        .value_kind:     by_value
      - .offset:         176
        .size:           4
        .value_kind:     by_value
      - .offset:         180
        .size:           4
        .value_kind:     by_value
      - .offset:         184
        .size:           4
        .value_kind:     by_value
      - .offset:         188
        .size:           4
        .value_kind:     by_value
      - .offset:         192
        .size:           4
        .value_kind:     by_value
      - .offset:         200
        .size:           8
        .value_kind:     by_value
      - .offset:         208
        .size:           4
        .value_kind:     hidden_block_count_x
      - .offset:         212
        .size:           4
        .value_kind:     hidden_block_count_y
      - .offset:         216
        .size:           4
        .value_kind:     hidden_block_count_z
      - .offset:         220
        .size:           2
        .value_kind:     hidden_group_size_x
      - .offset:         222
        .size:           2
        .value_kind:     hidden_group_size_y
      - .offset:         224
        .size:           2
        .value_kind:     hidden_group_size_z
      - .offset:         226
        .size:           2
        .value_kind:     hidden_remainder_x
      - .offset:         228
        .size:           2
        .value_kind:     hidden_remainder_y
      - .offset:         230
        .size:           2
        .value_kind:     hidden_remainder_z
      - .offset:         248
        .size:           8
        .value_kind:     hidden_global_offset_x
      - .offset:         256
        .size:           8
        .value_kind:     hidden_global_offset_y
      - .offset:         264
        .size:           8
        .value_kind:     hidden_global_offset_z
      - .offset:         272
        .size:           2
        .value_kind:     hidden_grid_dims
    .group_segment_fixed_size: 18944
    .kernarg_segment_align: 8
    .kernarg_segment_size: 464
    .language:       OpenCL C
    .language_version:
      - 2
      - 0
    .max_flat_workgroup_size: 256
    .name:           _ZL15flash_attn_tileILi192ELi128ELi2ELi16ELb1EEvPKcS1_S1_S1_S1_PKiPfP15HIP_vector_typeIfLj2EEffffjfiS5_IjLj3EEiiiiiiiiiiiliiliiiiil
    .private_segment_fixed_size: 0
    .sgpr_count:     43
    .sgpr_spill_count: 0
    .symbol:         _ZL15flash_attn_tileILi192ELi128ELi2ELi16ELb1EEvPKcS1_S1_S1_S1_PKiPfP15HIP_vector_typeIfLj2EEffffjfiS5_IjLj3EEiiiiiiiiiiiliiliiiiil.kd
    .uniform_work_group_size: 1
    .uses_dynamic_stack: false
    .vgpr_count:     91
    .vgpr_spill_count: 0
    .wavefront_size: 64
  - .agpr_count:     0
    .args:
      - .address_space:  global
        .offset:         0
        .size:           8
        .value_kind:     global_buffer
      - .address_space:  global
        .offset:         8
        .size:           8
        .value_kind:     global_buffer
      - .address_space:  global
        .offset:         16
        .size:           8
        .value_kind:     global_buffer
      - .address_space:  global
        .offset:         24
        .size:           8
        .value_kind:     global_buffer
      - .address_space:  global
        .offset:         32
        .size:           8
        .value_kind:     global_buffer
      - .address_space:  global
        .offset:         40
        .size:           8
        .value_kind:     global_buffer
      - .address_space:  global
        .offset:         48
        .size:           8
        .value_kind:     global_buffer
      - .address_space:  global
        .offset:         56
        .size:           8
        .value_kind:     global_buffer
      - .offset:         64
        .size:           4
        .value_kind:     by_value
      - .offset:         68
        .size:           4
        .value_kind:     by_value
      - .offset:         72
        .size:           4
        .value_kind:     by_value
      - .offset:         76
        .size:           4
        .value_kind:     by_value
      - .offset:         80
        .size:           4
        .value_kind:     by_value
      - .offset:         84
        .size:           4
        .value_kind:     by_value
      - .offset:         88
        .size:           4
        .value_kind:     by_value
      - .offset:         92
        .size:           12
        .value_kind:     by_value
      - .offset:         104
        .size:           4
        .value_kind:     by_value
      - .offset:         108
        .size:           4
        .value_kind:     by_value
      - .offset:         112
        .size:           4
        .value_kind:     by_value
      - .offset:         116
        .size:           4
        .value_kind:     by_value
      - .offset:         120
        .size:           4
        .value_kind:     by_value
      - .offset:         124
        .size:           4
        .value_kind:     by_value
      - .offset:         128
        .size:           4
        .value_kind:     by_value
      - .offset:         132
        .size:           4
        .value_kind:     by_value
      - .offset:         136
        .size:           4
        .value_kind:     by_value
      - .offset:         140
        .size:           4
        .value_kind:     by_value
      - .offset:         144
        .size:           4
        .value_kind:     by_value
      - .offset:         152
        .size:           8
        .value_kind:     by_value
      - .offset:         160
        .size:           4
        .value_kind:     by_value
      - .offset:         164
        .size:           4
        .value_kind:     by_value
      - .offset:         168
        .size:           8
        .value_kind:     by_value
      - .offset:         176
        .size:           4
        .value_kind:     by_value
      - .offset:         180
        .size:           4
        .value_kind:     by_value
      - .offset:         184
        .size:           4
        .value_kind:     by_value
      - .offset:         188
        .size:           4
        .value_kind:     by_value
      - .offset:         192
        .size:           4
        .value_kind:     by_value
      - .offset:         200
        .size:           8
        .value_kind:     by_value
      - .offset:         208
        .size:           4
        .value_kind:     hidden_block_count_x
      - .offset:         212
        .size:           4
        .value_kind:     hidden_block_count_y
      - .offset:         216
        .size:           4
        .value_kind:     hidden_block_count_z
      - .offset:         220
        .size:           2
        .value_kind:     hidden_group_size_x
      - .offset:         222
        .size:           2
        .value_kind:     hidden_group_size_y
      - .offset:         224
        .size:           2
        .value_kind:     hidden_group_size_z
      - .offset:         226
        .size:           2
        .value_kind:     hidden_remainder_x
      - .offset:         228
        .size:           2
        .value_kind:     hidden_remainder_y
      - .offset:         230
        .size:           2
        .value_kind:     hidden_remainder_z
      - .offset:         248
        .size:           8
        .value_kind:     hidden_global_offset_x
      - .offset:         256
        .size:           8
        .value_kind:     hidden_global_offset_y
      - .offset:         264
        .size:           8
        .value_kind:     hidden_global_offset_z
      - .offset:         272
        .size:           2
        .value_kind:     hidden_grid_dims
    .group_segment_fixed_size: 11776
    .kernarg_segment_align: 8
    .kernarg_segment_size: 464
    .language:       OpenCL C
    .language_version:
      - 2
      - 0
    .max_flat_workgroup_size: 256
    .name:           _ZL15flash_attn_tileILi192ELi128ELi1ELi16ELb1EEvPKcS1_S1_S1_S1_PKiPfP15HIP_vector_typeIfLj2EEffffjfiS5_IjLj3EEiiiiiiiiiiiliiliiiiil
    .private_segment_fixed_size: 0
    .sgpr_count:     43
    .sgpr_spill_count: 0
    .symbol:         _ZL15flash_attn_tileILi192ELi128ELi1ELi16ELb1EEvPKcS1_S1_S1_S1_PKiPfP15HIP_vector_typeIfLj2EEffffjfiS5_IjLj3EEiiiiiiiiiiiliiliiiiil.kd
    .uniform_work_group_size: 1
    .uses_dynamic_stack: false
    .vgpr_count:     96
    .vgpr_spill_count: 0
    .wavefront_size: 64
  - .agpr_count:     0
    .args:
      - .address_space:  global
        .offset:         0
        .size:           8
        .value_kind:     global_buffer
      - .address_space:  global
        .offset:         8
        .size:           8
        .value_kind:     global_buffer
      - .address_space:  global
        .offset:         16
        .size:           8
        .value_kind:     global_buffer
      - .address_space:  global
        .offset:         24
        .size:           8
        .value_kind:     global_buffer
      - .address_space:  global
        .offset:         32
        .size:           8
        .value_kind:     global_buffer
      - .address_space:  global
        .offset:         40
        .size:           8
        .value_kind:     global_buffer
      - .address_space:  global
        .offset:         48
        .size:           8
        .value_kind:     global_buffer
      - .address_space:  global
        .offset:         56
        .size:           8
        .value_kind:     global_buffer
      - .offset:         64
        .size:           4
        .value_kind:     by_value
      - .offset:         68
        .size:           4
        .value_kind:     by_value
      - .offset:         72
        .size:           4
        .value_kind:     by_value
      - .offset:         76
        .size:           4
        .value_kind:     by_value
      - .offset:         80
        .size:           4
        .value_kind:     by_value
      - .offset:         84
        .size:           4
        .value_kind:     by_value
      - .offset:         88
        .size:           4
        .value_kind:     by_value
      - .offset:         92
        .size:           12
        .value_kind:     by_value
      - .offset:         104
        .size:           4
        .value_kind:     by_value
      - .offset:         108
        .size:           4
        .value_kind:     by_value
      - .offset:         112
        .size:           4
        .value_kind:     by_value
      - .offset:         116
        .size:           4
        .value_kind:     by_value
      - .offset:         120
        .size:           4
        .value_kind:     by_value
      - .offset:         124
        .size:           4
        .value_kind:     by_value
      - .offset:         128
        .size:           4
        .value_kind:     by_value
      - .offset:         132
        .size:           4
        .value_kind:     by_value
      - .offset:         136
        .size:           4
        .value_kind:     by_value
      - .offset:         140
        .size:           4
        .value_kind:     by_value
      - .offset:         144
        .size:           4
        .value_kind:     by_value
      - .offset:         152
        .size:           8
        .value_kind:     by_value
      - .offset:         160
        .size:           4
        .value_kind:     by_value
      - .offset:         164
        .size:           4
        .value_kind:     by_value
      - .offset:         168
        .size:           8
        .value_kind:     by_value
      - .offset:         176
        .size:           4
        .value_kind:     by_value
      - .offset:         180
        .size:           4
        .value_kind:     by_value
      - .offset:         184
        .size:           4
        .value_kind:     by_value
      - .offset:         188
        .size:           4
        .value_kind:     by_value
      - .offset:         192
        .size:           4
        .value_kind:     by_value
      - .offset:         200
        .size:           8
        .value_kind:     by_value
      - .offset:         208
        .size:           4
        .value_kind:     hidden_block_count_x
      - .offset:         212
        .size:           4
        .value_kind:     hidden_block_count_y
      - .offset:         216
        .size:           4
        .value_kind:     hidden_block_count_z
      - .offset:         220
        .size:           2
        .value_kind:     hidden_group_size_x
      - .offset:         222
        .size:           2
        .value_kind:     hidden_group_size_y
      - .offset:         224
        .size:           2
        .value_kind:     hidden_group_size_z
      - .offset:         226
        .size:           2
        .value_kind:     hidden_remainder_x
      - .offset:         228
        .size:           2
        .value_kind:     hidden_remainder_y
      - .offset:         230
        .size:           2
        .value_kind:     hidden_remainder_z
      - .offset:         248
        .size:           8
        .value_kind:     hidden_global_offset_x
      - .offset:         256
        .size:           8
        .value_kind:     hidden_global_offset_y
      - .offset:         264
        .size:           8
        .value_kind:     hidden_global_offset_z
      - .offset:         272
        .size:           2
        .value_kind:     hidden_grid_dims
    .group_segment_fixed_size: 18944
    .kernarg_segment_align: 8
    .kernarg_segment_size: 464
    .language:       OpenCL C
    .language_version:
      - 2
      - 0
    .max_flat_workgroup_size: 256
    .name:           _ZL15flash_attn_tileILi192ELi128ELi4ELi8ELb1EEvPKcS1_S1_S1_S1_PKiPfP15HIP_vector_typeIfLj2EEffffjfiS5_IjLj3EEiiiiiiiiiiiliiliiiiil
    .private_segment_fixed_size: 0
    .sgpr_count:     43
    .sgpr_spill_count: 0
    .symbol:         _ZL15flash_attn_tileILi192ELi128ELi4ELi8ELb1EEvPKcS1_S1_S1_S1_PKiPfP15HIP_vector_typeIfLj2EEffffjfiS5_IjLj3EEiiiiiiiiiiiliiliiiiil.kd
    .uniform_work_group_size: 1
    .uses_dynamic_stack: false
    .vgpr_count:     91
    .vgpr_spill_count: 0
    .wavefront_size: 64
  - .agpr_count:     0
    .args:
      - .address_space:  global
        .offset:         0
        .size:           8
        .value_kind:     global_buffer
      - .address_space:  global
        .offset:         8
        .size:           8
        .value_kind:     global_buffer
      - .address_space:  global
        .offset:         16
        .size:           8
        .value_kind:     global_buffer
      - .address_space:  global
        .offset:         24
        .size:           8
        .value_kind:     global_buffer
      - .address_space:  global
        .offset:         32
        .size:           8
        .value_kind:     global_buffer
      - .address_space:  global
        .offset:         40
        .size:           8
        .value_kind:     global_buffer
      - .address_space:  global
        .offset:         48
        .size:           8
        .value_kind:     global_buffer
      - .address_space:  global
        .offset:         56
        .size:           8
        .value_kind:     global_buffer
      - .offset:         64
        .size:           4
        .value_kind:     by_value
      - .offset:         68
        .size:           4
        .value_kind:     by_value
      - .offset:         72
        .size:           4
        .value_kind:     by_value
      - .offset:         76
        .size:           4
        .value_kind:     by_value
      - .offset:         80
        .size:           4
        .value_kind:     by_value
      - .offset:         84
        .size:           4
        .value_kind:     by_value
      - .offset:         88
        .size:           4
        .value_kind:     by_value
      - .offset:         92
        .size:           12
        .value_kind:     by_value
      - .offset:         104
        .size:           4
        .value_kind:     by_value
      - .offset:         108
        .size:           4
        .value_kind:     by_value
      - .offset:         112
        .size:           4
        .value_kind:     by_value
      - .offset:         116
        .size:           4
        .value_kind:     by_value
      - .offset:         120
        .size:           4
        .value_kind:     by_value
      - .offset:         124
        .size:           4
        .value_kind:     by_value
      - .offset:         128
        .size:           4
        .value_kind:     by_value
      - .offset:         132
        .size:           4
        .value_kind:     by_value
      - .offset:         136
        .size:           4
        .value_kind:     by_value
      - .offset:         140
        .size:           4
        .value_kind:     by_value
      - .offset:         144
        .size:           4
        .value_kind:     by_value
      - .offset:         152
        .size:           8
        .value_kind:     by_value
      - .offset:         160
        .size:           4
        .value_kind:     by_value
      - .offset:         164
        .size:           4
        .value_kind:     by_value
      - .offset:         168
        .size:           8
        .value_kind:     by_value
      - .offset:         176
        .size:           4
        .value_kind:     by_value
      - .offset:         180
        .size:           4
        .value_kind:     by_value
      - .offset:         184
        .size:           4
        .value_kind:     by_value
      - .offset:         188
        .size:           4
        .value_kind:     by_value
      - .offset:         192
        .size:           4
        .value_kind:     by_value
      - .offset:         200
        .size:           8
        .value_kind:     by_value
      - .offset:         208
        .size:           4
        .value_kind:     hidden_block_count_x
      - .offset:         212
        .size:           4
        .value_kind:     hidden_block_count_y
      - .offset:         216
        .size:           4
        .value_kind:     hidden_block_count_z
      - .offset:         220
        .size:           2
        .value_kind:     hidden_group_size_x
      - .offset:         222
        .size:           2
        .value_kind:     hidden_group_size_y
      - .offset:         224
        .size:           2
        .value_kind:     hidden_group_size_z
      - .offset:         226
        .size:           2
        .value_kind:     hidden_remainder_x
      - .offset:         228
        .size:           2
        .value_kind:     hidden_remainder_y
      - .offset:         230
        .size:           2
        .value_kind:     hidden_remainder_z
      - .offset:         248
        .size:           8
        .value_kind:     hidden_global_offset_x
      - .offset:         256
        .size:           8
        .value_kind:     hidden_global_offset_y
      - .offset:         264
        .size:           8
        .value_kind:     hidden_global_offset_z
      - .offset:         272
        .size:           2
        .value_kind:     hidden_grid_dims
    .group_segment_fixed_size: 11776
    .kernarg_segment_align: 8
    .kernarg_segment_size: 464
    .language:       OpenCL C
    .language_version:
      - 2
      - 0
    .max_flat_workgroup_size: 256
    .name:           _ZL15flash_attn_tileILi192ELi128ELi2ELi8ELb1EEvPKcS1_S1_S1_S1_PKiPfP15HIP_vector_typeIfLj2EEffffjfiS5_IjLj3EEiiiiiiiiiiiliiliiiiil
    .private_segment_fixed_size: 0
    .sgpr_count:     43
    .sgpr_spill_count: 0
    .symbol:         _ZL15flash_attn_tileILi192ELi128ELi2ELi8ELb1EEvPKcS1_S1_S1_S1_PKiPfP15HIP_vector_typeIfLj2EEffffjfiS5_IjLj3EEiiiiiiiiiiiliiliiiiil.kd
    .uniform_work_group_size: 1
    .uses_dynamic_stack: false
    .vgpr_count:     96
    .vgpr_spill_count: 0
    .wavefront_size: 64
  - .agpr_count:     0
    .args:
      - .address_space:  global
        .offset:         0
        .size:           8
        .value_kind:     global_buffer
      - .address_space:  global
        .offset:         8
        .size:           8
        .value_kind:     global_buffer
      - .address_space:  global
        .offset:         16
        .size:           8
        .value_kind:     global_buffer
      - .address_space:  global
        .offset:         24
        .size:           8
        .value_kind:     global_buffer
      - .address_space:  global
        .offset:         32
        .size:           8
        .value_kind:     global_buffer
      - .address_space:  global
        .offset:         40
        .size:           8
        .value_kind:     global_buffer
      - .address_space:  global
        .offset:         48
        .size:           8
        .value_kind:     global_buffer
      - .address_space:  global
        .offset:         56
        .size:           8
        .value_kind:     global_buffer
      - .offset:         64
        .size:           4
        .value_kind:     by_value
      - .offset:         68
        .size:           4
        .value_kind:     by_value
      - .offset:         72
        .size:           4
        .value_kind:     by_value
      - .offset:         76
        .size:           4
        .value_kind:     by_value
      - .offset:         80
        .size:           4
        .value_kind:     by_value
      - .offset:         84
        .size:           4
        .value_kind:     by_value
      - .offset:         88
        .size:           4
        .value_kind:     by_value
      - .offset:         92
        .size:           12
        .value_kind:     by_value
      - .offset:         104
        .size:           4
        .value_kind:     by_value
      - .offset:         108
        .size:           4
        .value_kind:     by_value
      - .offset:         112
        .size:           4
        .value_kind:     by_value
      - .offset:         116
        .size:           4
        .value_kind:     by_value
      - .offset:         120
        .size:           4
        .value_kind:     by_value
      - .offset:         124
        .size:           4
        .value_kind:     by_value
      - .offset:         128
        .size:           4
        .value_kind:     by_value
      - .offset:         132
        .size:           4
        .value_kind:     by_value
      - .offset:         136
        .size:           4
        .value_kind:     by_value
      - .offset:         140
        .size:           4
        .value_kind:     by_value
      - .offset:         144
        .size:           4
        .value_kind:     by_value
      - .offset:         152
        .size:           8
        .value_kind:     by_value
      - .offset:         160
        .size:           4
        .value_kind:     by_value
      - .offset:         164
        .size:           4
        .value_kind:     by_value
      - .offset:         168
        .size:           8
        .value_kind:     by_value
      - .offset:         176
        .size:           4
        .value_kind:     by_value
      - .offset:         180
        .size:           4
        .value_kind:     by_value
      - .offset:         184
        .size:           4
        .value_kind:     by_value
      - .offset:         188
        .size:           4
        .value_kind:     by_value
      - .offset:         192
        .size:           4
        .value_kind:     by_value
      - .offset:         200
        .size:           8
        .value_kind:     by_value
      - .offset:         208
        .size:           4
        .value_kind:     hidden_block_count_x
      - .offset:         212
        .size:           4
        .value_kind:     hidden_block_count_y
      - .offset:         216
        .size:           4
        .value_kind:     hidden_block_count_z
      - .offset:         220
        .size:           2
        .value_kind:     hidden_group_size_x
      - .offset:         222
        .size:           2
        .value_kind:     hidden_group_size_y
      - .offset:         224
        .size:           2
        .value_kind:     hidden_group_size_z
      - .offset:         226
        .size:           2
        .value_kind:     hidden_remainder_x
      - .offset:         228
        .size:           2
        .value_kind:     hidden_remainder_y
      - .offset:         230
        .size:           2
        .value_kind:     hidden_remainder_z
      - .offset:         248
        .size:           8
        .value_kind:     hidden_global_offset_x
      - .offset:         256
        .size:           8
        .value_kind:     hidden_global_offset_y
      - .offset:         264
        .size:           8
        .value_kind:     hidden_global_offset_z
      - .offset:         272
        .size:           2
        .value_kind:     hidden_grid_dims
    .group_segment_fixed_size: 13312
    .kernarg_segment_align: 8
    .kernarg_segment_size: 464
    .language:       OpenCL C
    .language_version:
      - 2
      - 0
    .max_flat_workgroup_size: 256
    .name:           _ZL15flash_attn_tileILi192ELi128ELi1ELi8ELb1EEvPKcS1_S1_S1_S1_PKiPfP15HIP_vector_typeIfLj2EEffffjfiS5_IjLj3EEiiiiiiiiiiiliiliiiiil
    .private_segment_fixed_size: 0
    .sgpr_count:     44
    .sgpr_spill_count: 0
    .symbol:         _ZL15flash_attn_tileILi192ELi128ELi1ELi8ELb1EEvPKcS1_S1_S1_S1_PKiPfP15HIP_vector_typeIfLj2EEffffjfiS5_IjLj3EEiiiiiiiiiiiliiliiiiil.kd
    .uniform_work_group_size: 1
    .uses_dynamic_stack: false
    .vgpr_count:     64
    .vgpr_spill_count: 0
    .wavefront_size: 64
amdhsa.target:   amdgcn-amd-amdhsa--gfx90a
amdhsa.version:
  - 1
  - 2
...

	.end_amdgpu_metadata
